;; amdgpu-corpus repo=ROCm/rocBLAS kind=compiled arch=gfx90a opt=O3
	.text
	.amdgcn_target "amdgcn-amd-amdhsa--gfx90a"
	.amdhsa_code_object_version 6
	.section	.text._ZL19rocblas_hpmv_kernelILi64ELi16EPK19rocblas_complex_numIfES3_PS1_EvbiT1_T2_llS6_lllS5_T3_llli,"axG",@progbits,_ZL19rocblas_hpmv_kernelILi64ELi16EPK19rocblas_complex_numIfES3_PS1_EvbiT1_T2_llS6_lllS5_T3_llli,comdat
	.globl	_ZL19rocblas_hpmv_kernelILi64ELi16EPK19rocblas_complex_numIfES3_PS1_EvbiT1_T2_llS6_lllS5_T3_llli ; -- Begin function _ZL19rocblas_hpmv_kernelILi64ELi16EPK19rocblas_complex_numIfES3_PS1_EvbiT1_T2_llS6_lllS5_T3_llli
	.p2align	8
	.type	_ZL19rocblas_hpmv_kernelILi64ELi16EPK19rocblas_complex_numIfES3_PS1_EvbiT1_T2_llS6_lllS5_T3_llli,@function
_ZL19rocblas_hpmv_kernelILi64ELi16EPK19rocblas_complex_numIfES3_PS1_EvbiT1_T2_llS6_lllS5_T3_llli: ; @_ZL19rocblas_hpmv_kernelILi64ELi16EPK19rocblas_complex_numIfES3_PS1_EvbiT1_T2_llS6_lllS5_T3_llli
; %bb.0:
	s_load_dwordx16 s[8:23], s[4:5], 0x8
	s_load_dwordx8 s[24:31], s[4:5], 0x48
	s_waitcnt lgkmcnt(0)
	s_load_dwordx2 s[36:37], s[8:9], 0x0
	s_load_dwordx2 s[34:35], s[24:25], 0x0
	s_waitcnt lgkmcnt(0)
	v_cmp_eq_f32_e64 s[0:1], s36, 0
	v_cmp_eq_f32_e64 s[2:3], s37, 0
	v_cmp_eq_f32_e64 s[8:9], s34, 1.0
	v_cmp_eq_f32_e64 s[24:25], s35, 0
	s_and_b64 s[0:1], s[0:1], s[2:3]
	s_and_b64 s[2:3], s[8:9], s[24:25]
	;; [unrolled: 1-line block ×3, first 2 shown]
	s_and_b64 vcc, exec, s[0:1]
	s_cbranch_vccnz .LBB0_22
; %bb.1:
	s_load_dwordx2 s[0:1], s[4:5], 0x68
	s_load_dwordx2 s[8:9], s[4:5], 0x0
	v_and_b32_e32 v8, 0x3ff, v0
	v_bfe_u32 v0, v0, 10, 10
	v_and_b32_e32 v11, 63, v8
	s_waitcnt lgkmcnt(0)
	s_mul_i32 s1, s7, s1
	s_mul_hi_u32 s2, s7, s0
	s_mul_i32 s0, s7, s0
	s_add_i32 s1, s2, s1
	s_lshl_b64 s[0:1], s[0:1], 3
	s_add_u32 s2, s26, s0
	s_addc_u32 s3, s27, s1
	s_lshl_b64 s[0:1], s[28:29], 3
	s_add_u32 s26, s2, s0
	s_addc_u32 s27, s3, s1
	s_lshl_b32 s28, s6, 6
	s_or_b32 s0, s36, s37
	v_lshl_add_u32 v9, v0, 6, v8
	v_or_b32_e32 v10, s28, v11
	s_bitset0_b32 s0, 31
	s_cmp_lg_u32 s0, 0
	s_mov_b64 s[2:3], -1
	v_cmp_gt_i32_e32 vcc, s9, v10
	v_cmp_gt_u32_e64 s[0:1], 64, v9
	s_cbranch_scc1 .LBB0_8
; %bb.2:
	s_and_b64 s[2:3], s[0:1], vcc
	s_and_saveexec_b64 s[0:1], s[2:3]
	s_cbranch_execz .LBB0_7
; %bb.3:
	v_or_b32_e32 v0, s28, v8
	v_cmp_gt_i32_e32 vcc, s9, v0
	s_and_b64 exec, exec, vcc
	s_cbranch_execz .LBB0_7
; %bb.4:
	v_ashrrev_i32_e32 v1, 31, v0
	v_cmp_neq_f32_e64 s[2:3], s34, 0
	v_cmp_neq_f32_e64 s[4:5], s35, 0
	v_mul_lo_u32 v2, v0, s31
	v_mul_lo_u32 v3, v1, s30
	v_mad_u64_u32 v[0:1], s[24:25], v0, s30, 0
	v_add3_u32 v1, v1, v2, v3
	s_or_b64 s[2:3], s[2:3], s[4:5]
	s_andn2_b64 vcc, exec, s[2:3]
	v_mov_b32_e32 v2, 0
	v_lshlrev_b64 v[0:1], 3, v[0:1]
	v_mov_b32_e32 v3, 0
	s_cbranch_vccnz .LBB0_6
; %bb.5:
	v_mov_b32_e32 v3, s27
	v_add_co_u32_e32 v2, vcc, s26, v0
	v_addc_co_u32_e32 v3, vcc, v3, v1, vcc
	global_load_dwordx2 v[4:5], v[2:3], off
	s_waitcnt vmcnt(0)
	v_pk_mul_f32 v[6:7], s[34:35], v[4:5] op_sel:[0,1]
	v_pk_fma_f32 v[2:3], s[34:35], v[4:5], v[6:7] op_sel:[0,0,1] op_sel_hi:[1,1,0] neg_lo:[0,0,1] neg_hi:[0,0,1]
	v_pk_fma_f32 v[4:5], s[34:35], v[4:5], v[6:7] op_sel:[0,0,1] op_sel_hi:[1,0,0]
	v_mov_b32_e32 v3, v5
.LBB0_6:
	v_mov_b32_e32 v4, s27
	v_add_co_u32_e32 v0, vcc, s26, v0
	v_addc_co_u32_e32 v1, vcc, v4, v1, vcc
	global_store_dwordx2 v[0:1], v[2:3], off
.LBB0_7:
	s_or_b64 exec, exec, s[0:1]
	s_mov_b64 s[2:3], 0
.LBB0_8:
	s_andn2_b64 vcc, exec, s[2:3]
	s_cbranch_vccnz .LBB0_22
; %bb.9:
	v_lshrrev_b32_e32 v12, 6, v9
	v_mov_b32_e32 v1, 0
	v_cmp_gt_i32_e32 vcc, s9, v12
	v_mov_b32_e32 v0, v1
	s_and_saveexec_b64 s[24:25], vcc
	s_cbranch_execz .LBB0_17
; %bb.10:
	s_mul_i32 s0, s7, s15
	s_mul_hi_u32 s1, s7, s14
	s_add_i32 s1, s1, s0
	s_mul_i32 s0, s7, s14
	s_lshl_b64 s[0:1], s[0:1], 3
	s_add_u32 s2, s10, s0
	s_addc_u32 s3, s11, s1
	s_lshl_b64 s[0:1], s[12:13], 3
	s_add_u32 s29, s2, s0
	s_addc_u32 s33, s3, s1
	s_bitcmp1_b32 s8, 0
	s_cselect_b64 vcc, -1, 0
	s_lshl_b32 s2, s9, 1
	v_lshrrev_b32_e32 v3, 6, v9
	s_or_b32 s8, s2, 1
	v_mad_u64_u32 v[0:1], s[2:3], s20, v3, 0
	v_mov_b32_e32 v2, v1
	v_mad_u64_u32 v[2:3], s[2:3], s21, v3, v[2:3]
	s_mul_i32 s2, s23, s7
	s_mul_hi_u32 s3, s22, s7
	s_add_i32 s3, s3, s2
	s_mul_i32 s2, s22, s7
	s_lshl_b64 s[2:3], s[2:3], 3
	s_lshl_b64 s[4:5], s[18:19], 3
	s_add_u32 s4, s16, s4
	s_addc_u32 s5, s17, s5
	v_mov_b32_e32 v1, v2
	s_add_u32 s2, s4, s2
	v_lshlrev_b64 v[0:1], 3, v[0:1]
	s_addc_u32 s3, s5, s3
	v_mov_b32_e32 v3, s3
	v_add_co_u32_e64 v2, s[2:3], s2, v0
	s_lshl_b64 s[10:11], s[20:21], 7
	v_mov_b32_e32 v5, 0
	v_cmp_gt_i32_e64 s[0:1], s9, v10
	v_addc_co_u32_e64 v3, s[2:3], v3, v1, s[2:3]
	v_add_u32_e32 v13, s28, v11
	s_mov_b64 s[12:13], 0
	s_xor_b64 s[14:15], vcc, -1
	v_mov_b32_e32 v14, s11
	v_mov_b32_e32 v0, v5
	;; [unrolled: 1-line block ×3, first 2 shown]
	s_branch .LBB0_13
.LBB0_11:                               ;   in Loop: Header=BB0_13 Depth=1
	s_or_b64 exec, exec, s[6:7]
	global_load_dwordx2 v[16:17], v[2:3], off
	global_load_dword v18, v[6:7], off
	s_waitcnt vmcnt(1)
	v_pk_mul_f32 v[6:7], v[4:5], v[16:17] op_sel_hi:[0,1]
	s_waitcnt vmcnt(0)
	v_pk_fma_f32 v[20:21], v[18:19], v[16:17], v[6:7] op_sel:[0,0,1] op_sel_hi:[1,1,0] neg_lo:[0,0,1] neg_hi:[0,0,1]
	v_pk_fma_f32 v[6:7], v[18:19], v[16:17], v[6:7] op_sel:[0,0,1] op_sel_hi:[0,1,0]
	v_mov_b32_e32 v21, v7
	v_pk_add_f32 v[0:1], v[0:1], v[20:21]
.LBB0_12:                               ;   in Loop: Header=BB0_13 Depth=1
	s_or_b64 exec, exec, s[16:17]
	v_add_u32_e32 v12, 16, v12
	v_cmp_le_i32_e64 s[2:3], s9, v12
	s_or_b64 s[12:13], s[2:3], s[12:13]
	v_add_co_u32_e64 v2, s[2:3], s10, v2
	v_addc_co_u32_e64 v3, s[2:3], v3, v14, s[2:3]
	s_andn2_b64 exec, exec, s[12:13]
	s_cbranch_execz .LBB0_16
.LBB0_13:                               ; =>This Inner Loop Header: Depth=1
	s_and_saveexec_b64 s[16:17], s[0:1]
	s_cbranch_execz .LBB0_12
; %bb.14:                               ;   in Loop: Header=BB0_13 Depth=1
	v_cmp_le_i32_e64 s[2:3], v10, v12
	s_or_b64 s[4:5], s[2:3], s[14:15]
	v_cmp_ge_i32_e64 s[2:3], v10, v12
	s_or_b64 s[2:3], s[2:3], vcc
	s_and_b64 s[2:3], s[4:5], s[2:3]
	v_cndmask_b32_e64 v7, v10, v12, s[2:3]
	v_sub_u32_e32 v15, s8, v7
	v_add_u32_e32 v16, 1, v7
	v_cndmask_b32_e64 v4, v12, v10, s[2:3]
	v_cndmask_b32_e64 v6, v7, 0, vcc
	v_cndmask_b32_e32 v15, v15, v16, vcc
	v_sub_u32_e32 v6, v4, v6
	v_mul_hi_i32 v4, v15, v7
	v_lshrrev_b32_e32 v4, 31, v4
	v_mad_i64_i32 v[16:17], s[4:5], v15, v7, v[4:5]
	v_lshlrev_b64 v[16:17], 2, v[16:17]
	v_and_b32_e32 v4, -8, v16
	v_ashrrev_i32_e32 v7, 31, v6
	v_mov_b32_e32 v15, s33
	v_add_co_u32_e64 v4, s[6:7], s29, v4
	v_addc_co_u32_e64 v15, s[6:7], v15, v17, s[6:7]
	v_lshlrev_b64 v[6:7], 3, v[6:7]
	v_add_co_u32_e64 v6, s[6:7], v4, v6
	v_cmp_ne_u32_e64 s[4:5], v13, v12
	v_addc_co_u32_e64 v7, s[6:7], v15, v7, s[6:7]
	v_mov_b32_e32 v4, 0
	s_and_saveexec_b64 s[6:7], s[4:5]
	s_cbranch_execz .LBB0_11
; %bb.15:                               ;   in Loop: Header=BB0_13 Depth=1
	global_load_dword v4, v[6:7], off offset:4
	s_waitcnt vmcnt(0)
	v_cndmask_b32_e64 v4, -v4, v4, s[2:3]
	s_branch .LBB0_11
.LBB0_16:
	s_or_b64 exec, exec, s[12:13]
.LBB0_17:
	s_or_b64 exec, exec, s[24:25]
	s_mov_b32 s0, 0x1ffc0
	v_and_or_b32 v2, v9, s0, v11
	v_cmp_gt_u32_e32 vcc, 64, v9
	v_cmp_gt_i32_e64 s[0:1], s9, v10
	v_lshlrev_b32_e32 v2, 3, v2
	s_and_b64 s[0:1], vcc, s[0:1]
	ds_write_b64 v2, v[0:1]
	s_waitcnt lgkmcnt(0)
	s_barrier
	s_and_saveexec_b64 s[2:3], s[0:1]
	s_cbranch_execz .LBB0_22
; %bb.18:
	v_lshlrev_b32_e32 v6, 3, v9
	v_lshlrev_b32_e32 v4, 3, v8
	ds_read_b64 v[0:1], v6
	ds_read_b64 v[2:3], v4 offset:512
	v_mov_b32_e32 v5, 0
	s_ashr_i32 s1, s9, 31
	s_mov_b32 s0, s9
	s_waitcnt lgkmcnt(0)
	v_pk_add_f32 v[0:1], v[0:1], v[2:3]
	ds_write_b64 v6, v[0:1]
	ds_read_b64 v[2:3], v4 offset:1024
	s_waitcnt lgkmcnt(0)
	v_pk_add_f32 v[0:1], v[0:1], v[2:3]
	ds_write_b64 v6, v[0:1]
	ds_read_b64 v[2:3], v4 offset:1536
	;; [unrolled: 4-line block ×14, first 2 shown]
	v_or_b32_e32 v4, s28, v8
	v_cmp_gt_i64_e32 vcc, s[0:1], v[4:5]
	s_waitcnt lgkmcnt(0)
	v_pk_add_f32 v[2:3], v[0:1], v[2:3]
	ds_write_b64 v6, v[2:3]
	s_and_b64 exec, exec, vcc
	s_cbranch_execz .LBB0_22
; %bb.19:
	v_pk_mul_f32 v[6:7], v[2:3], s[36:37] op_sel:[1,0]
	v_pk_fma_f32 v[0:1], v[2:3], s[36:37], v[6:7] op_sel:[0,0,1] op_sel_hi:[0,1,0] neg_lo:[0,0,1] neg_hi:[0,0,1]
	v_pk_fma_f32 v[2:3], v[2:3], s[36:37], v[6:7] op_sel:[0,0,1] op_sel_hi:[0,1,0]
	v_mad_u64_u32 v[6:7], s[4:5], v4, s30, 0
	v_mov_b32_e32 v2, v7
	v_cmp_neq_f32_e64 s[0:1], s34, 0
	v_cmp_neq_f32_e64 s[2:3], s35, 0
	v_mad_u64_u32 v[4:5], s[4:5], v4, s31, v[2:3]
	v_mov_b32_e32 v7, v4
	s_or_b64 s[0:1], s[0:1], s[2:3]
	s_andn2_b64 vcc, exec, s[0:1]
	v_lshlrev_b64 v[4:5], 3, v[6:7]
	s_cbranch_vccnz .LBB0_21
; %bb.20:
	v_mov_b32_e32 v1, s27
	v_add_co_u32_e32 v6, vcc, s26, v4
	v_addc_co_u32_e32 v7, vcc, v1, v5, vcc
	global_load_dwordx2 v[6:7], v[6:7], off
	v_mov_b32_e32 v1, v3
	s_waitcnt vmcnt(0)
	v_pk_mul_f32 v[2:3], s[34:35], v[6:7] op_sel:[0,1]
	v_pk_fma_f32 v[8:9], s[34:35], v[6:7], v[2:3] op_sel:[0,0,1] op_sel_hi:[1,1,0] neg_lo:[0,0,1] neg_hi:[0,0,1]
	v_pk_fma_f32 v[2:3], s[34:35], v[6:7], v[2:3] op_sel:[0,0,1] op_sel_hi:[1,0,0]
	v_mov_b32_e32 v9, v3
	v_pk_add_f32 v[0:1], v[0:1], v[8:9]
	v_mov_b32_e32 v3, v1
.LBB0_21:
	v_mov_b32_e32 v1, s27
	v_add_co_u32_e32 v4, vcc, s26, v4
	v_addc_co_u32_e32 v5, vcc, v1, v5, vcc
	v_mov_b32_e32 v1, v3
	global_store_dwordx2 v[4:5], v[0:1], off
.LBB0_22:
	s_endpgm
	.section	.rodata,"a",@progbits
	.p2align	6, 0x0
	.amdhsa_kernel _ZL19rocblas_hpmv_kernelILi64ELi16EPK19rocblas_complex_numIfES3_PS1_EvbiT1_T2_llS6_lllS5_T3_llli
		.amdhsa_group_segment_fixed_size 8192
		.amdhsa_private_segment_fixed_size 0
		.amdhsa_kernarg_size 116
		.amdhsa_user_sgpr_count 6
		.amdhsa_user_sgpr_private_segment_buffer 1
		.amdhsa_user_sgpr_dispatch_ptr 0
		.amdhsa_user_sgpr_queue_ptr 0
		.amdhsa_user_sgpr_kernarg_segment_ptr 1
		.amdhsa_user_sgpr_dispatch_id 0
		.amdhsa_user_sgpr_flat_scratch_init 0
		.amdhsa_user_sgpr_kernarg_preload_length 0
		.amdhsa_user_sgpr_kernarg_preload_offset 0
		.amdhsa_user_sgpr_private_segment_size 0
		.amdhsa_uses_dynamic_stack 0
		.amdhsa_system_sgpr_private_segment_wavefront_offset 0
		.amdhsa_system_sgpr_workgroup_id_x 1
		.amdhsa_system_sgpr_workgroup_id_y 0
		.amdhsa_system_sgpr_workgroup_id_z 1
		.amdhsa_system_sgpr_workgroup_info 0
		.amdhsa_system_vgpr_workitem_id 1
		.amdhsa_next_free_vgpr 22
		.amdhsa_next_free_sgpr 38
		.amdhsa_accum_offset 24
		.amdhsa_reserve_vcc 1
		.amdhsa_reserve_flat_scratch 0
		.amdhsa_float_round_mode_32 0
		.amdhsa_float_round_mode_16_64 0
		.amdhsa_float_denorm_mode_32 3
		.amdhsa_float_denorm_mode_16_64 3
		.amdhsa_dx10_clamp 1
		.amdhsa_ieee_mode 1
		.amdhsa_fp16_overflow 0
		.amdhsa_tg_split 0
		.amdhsa_exception_fp_ieee_invalid_op 0
		.amdhsa_exception_fp_denorm_src 0
		.amdhsa_exception_fp_ieee_div_zero 0
		.amdhsa_exception_fp_ieee_overflow 0
		.amdhsa_exception_fp_ieee_underflow 0
		.amdhsa_exception_fp_ieee_inexact 0
		.amdhsa_exception_int_div_zero 0
	.end_amdhsa_kernel
	.section	.text._ZL19rocblas_hpmv_kernelILi64ELi16EPK19rocblas_complex_numIfES3_PS1_EvbiT1_T2_llS6_lllS5_T3_llli,"axG",@progbits,_ZL19rocblas_hpmv_kernelILi64ELi16EPK19rocblas_complex_numIfES3_PS1_EvbiT1_T2_llS6_lllS5_T3_llli,comdat
.Lfunc_end0:
	.size	_ZL19rocblas_hpmv_kernelILi64ELi16EPK19rocblas_complex_numIfES3_PS1_EvbiT1_T2_llS6_lllS5_T3_llli, .Lfunc_end0-_ZL19rocblas_hpmv_kernelILi64ELi16EPK19rocblas_complex_numIfES3_PS1_EvbiT1_T2_llS6_lllS5_T3_llli
                                        ; -- End function
	.section	.AMDGPU.csdata,"",@progbits
; Kernel info:
; codeLenInByte = 1656
; NumSgprs: 42
; NumVgprs: 22
; NumAgprs: 0
; TotalNumVgprs: 22
; ScratchSize: 0
; MemoryBound: 0
; FloatMode: 240
; IeeeMode: 1
; LDSByteSize: 8192 bytes/workgroup (compile time only)
; SGPRBlocks: 5
; VGPRBlocks: 2
; NumSGPRsForWavesPerEU: 42
; NumVGPRsForWavesPerEU: 22
; AccumOffset: 24
; Occupancy: 8
; WaveLimiterHint : 0
; COMPUTE_PGM_RSRC2:SCRATCH_EN: 0
; COMPUTE_PGM_RSRC2:USER_SGPR: 6
; COMPUTE_PGM_RSRC2:TRAP_HANDLER: 0
; COMPUTE_PGM_RSRC2:TGID_X_EN: 1
; COMPUTE_PGM_RSRC2:TGID_Y_EN: 0
; COMPUTE_PGM_RSRC2:TGID_Z_EN: 1
; COMPUTE_PGM_RSRC2:TIDIG_COMP_CNT: 1
; COMPUTE_PGM_RSRC3_GFX90A:ACCUM_OFFSET: 5
; COMPUTE_PGM_RSRC3_GFX90A:TG_SPLIT: 0
	.section	.text._ZL19rocblas_hpmv_kernelILi64ELi16E19rocblas_complex_numIfEPKS1_PS1_EvbiT1_T2_llS6_lllS5_T3_llli,"axG",@progbits,_ZL19rocblas_hpmv_kernelILi64ELi16E19rocblas_complex_numIfEPKS1_PS1_EvbiT1_T2_llS6_lllS5_T3_llli,comdat
	.globl	_ZL19rocblas_hpmv_kernelILi64ELi16E19rocblas_complex_numIfEPKS1_PS1_EvbiT1_T2_llS6_lllS5_T3_llli ; -- Begin function _ZL19rocblas_hpmv_kernelILi64ELi16E19rocblas_complex_numIfEPKS1_PS1_EvbiT1_T2_llS6_lllS5_T3_llli
	.p2align	8
	.type	_ZL19rocblas_hpmv_kernelILi64ELi16E19rocblas_complex_numIfEPKS1_PS1_EvbiT1_T2_llS6_lllS5_T3_llli,@function
_ZL19rocblas_hpmv_kernelILi64ELi16E19rocblas_complex_numIfEPKS1_PS1_EvbiT1_T2_llS6_lllS5_T3_llli: ; @_ZL19rocblas_hpmv_kernelILi64ELi16E19rocblas_complex_numIfEPKS1_PS1_EvbiT1_T2_llS6_lllS5_T3_llli
; %bb.0:
	s_load_dwordx4 s[36:39], s[4:5], 0x0
	s_load_dwordx2 s[34:35], s[4:5], 0x48
	s_waitcnt lgkmcnt(0)
	v_cmp_eq_f32_e64 s[0:1], s38, 0
	v_cmp_eq_f32_e64 s[2:3], s39, 0
	s_and_b64 s[0:1], s[0:1], s[2:3]
	v_cmp_eq_f32_e64 s[2:3], s34, 1.0
	v_cmp_eq_f32_e64 s[8:9], s35, 0
	s_and_b64 s[2:3], s[2:3], s[8:9]
	s_and_b64 s[0:1], s[0:1], s[2:3]
	s_and_b64 vcc, exec, s[0:1]
	s_cbranch_vccnz .LBB1_22
; %bb.1:
	s_load_dwordx8 s[8:15], s[4:5], 0x50
	v_and_b32_e32 v8, 0x3ff, v0
	v_bfe_u32 v0, v0, 10, 10
	v_and_b32_e32 v11, 63, v8
	v_lshl_add_u32 v9, v0, 6, v8
	s_waitcnt lgkmcnt(0)
	s_mul_i32 s1, s7, s15
	s_mul_hi_u32 s2, s7, s14
	s_mul_i32 s0, s7, s14
	s_add_i32 s1, s2, s1
	s_lshl_b64 s[0:1], s[0:1], 3
	s_add_u32 s2, s8, s0
	s_addc_u32 s3, s9, s1
	s_lshl_b64 s[0:1], s[10:11], 3
	s_add_u32 s33, s2, s0
	s_addc_u32 s40, s3, s1
	s_lshl_b32 s41, s6, 6
	s_or_b32 s0, s38, s39
	v_or_b32_e32 v10, s41, v11
	s_bitset0_b32 s0, 31
	s_cmp_lg_u32 s0, 0
	s_mov_b64 s[2:3], -1
	v_cmp_gt_i32_e32 vcc, s37, v10
	v_cmp_gt_u32_e64 s[0:1], 64, v9
	s_cbranch_scc1 .LBB1_8
; %bb.2:
	s_and_b64 s[2:3], s[0:1], vcc
	s_and_saveexec_b64 s[0:1], s[2:3]
	s_cbranch_execz .LBB1_7
; %bb.3:
	v_or_b32_e32 v0, s41, v8
	v_cmp_gt_i32_e32 vcc, s37, v0
	s_and_b64 exec, exec, vcc
	s_cbranch_execz .LBB1_7
; %bb.4:
	v_ashrrev_i32_e32 v1, 31, v0
	v_cmp_neq_f32_e64 s[2:3], s34, 0
	v_cmp_neq_f32_e64 s[8:9], s35, 0
	v_mul_lo_u32 v2, v0, s13
	v_mul_lo_u32 v3, v1, s12
	v_mad_u64_u32 v[0:1], s[10:11], v0, s12, 0
	v_add3_u32 v1, v1, v2, v3
	s_or_b64 s[2:3], s[2:3], s[8:9]
	s_andn2_b64 vcc, exec, s[2:3]
	v_mov_b32_e32 v2, 0
	v_lshlrev_b64 v[0:1], 3, v[0:1]
	v_mov_b32_e32 v3, 0
	s_cbranch_vccnz .LBB1_6
; %bb.5:
	v_mov_b32_e32 v3, s40
	v_add_co_u32_e32 v2, vcc, s33, v0
	v_addc_co_u32_e32 v3, vcc, v3, v1, vcc
	global_load_dwordx2 v[4:5], v[2:3], off
	s_waitcnt vmcnt(0)
	v_pk_mul_f32 v[6:7], s[34:35], v[4:5] op_sel:[0,1]
	v_pk_fma_f32 v[2:3], s[34:35], v[4:5], v[6:7] op_sel:[0,0,1] op_sel_hi:[1,1,0] neg_lo:[0,0,1] neg_hi:[0,0,1]
	v_pk_fma_f32 v[4:5], s[34:35], v[4:5], v[6:7] op_sel:[0,0,1] op_sel_hi:[1,0,0]
	v_mov_b32_e32 v3, v5
.LBB1_6:
	v_mov_b32_e32 v4, s40
	v_add_co_u32_e32 v0, vcc, s33, v0
	v_addc_co_u32_e32 v1, vcc, v4, v1, vcc
	global_store_dwordx2 v[0:1], v[2:3], off
.LBB1_7:
	s_or_b64 exec, exec, s[0:1]
	s_mov_b64 s[2:3], 0
.LBB1_8:
	s_andn2_b64 vcc, exec, s[2:3]
	s_cbranch_vccnz .LBB1_22
; %bb.9:
	v_lshrrev_b32_e32 v12, 6, v9
	v_mov_b32_e32 v1, 0
	v_cmp_gt_i32_e32 vcc, s37, v12
	v_mov_b32_e32 v0, v1
	s_and_saveexec_b64 s[8:9], vcc
	s_cbranch_execz .LBB1_17
; %bb.10:
	s_load_dwordx8 s[24:31], s[4:5], 0x10
	s_load_dwordx8 s[16:23], s[4:5], 0x30
	v_lshrrev_b32_e32 v3, 6, v9
	v_mov_b32_e32 v5, 0
	v_add_u32_e32 v13, s41, v11
	s_waitcnt lgkmcnt(0)
	s_mul_i32 s1, s7, s29
	s_mul_hi_u32 s2, s7, s28
	s_mul_i32 s0, s7, s28
	s_add_i32 s1, s2, s1
	s_lshl_b64 s[0:1], s[0:1], 3
	s_add_u32 s2, s24, s0
	s_addc_u32 s3, s25, s1
	s_lshl_b64 s[0:1], s[26:27], 3
	s_add_u32 s22, s2, s0
	s_addc_u32 s23, s3, s1
	s_bitcmp1_b32 s36, 0
	s_cselect_b64 vcc, -1, 0
	s_lshl_b32 s2, s37, 1
	s_or_b32 s24, s2, 1
	v_mad_u64_u32 v[0:1], s[2:3], s18, v3, 0
	v_mov_b32_e32 v2, v1
	v_mad_u64_u32 v[2:3], s[2:3], s19, v3, v[2:3]
	s_mul_i32 s2, s21, s7
	s_mul_hi_u32 s3, s20, s7
	s_add_i32 s3, s3, s2
	s_mul_i32 s2, s20, s7
	s_lshl_b64 s[2:3], s[2:3], 3
	s_lshl_b64 s[4:5], s[16:17], 3
	s_add_u32 s4, s30, s4
	s_addc_u32 s5, s31, s5
	v_mov_b32_e32 v1, v2
	s_add_u32 s2, s4, s2
	v_lshlrev_b64 v[0:1], 3, v[0:1]
	s_addc_u32 s3, s5, s3
	v_mov_b32_e32 v3, s3
	v_add_co_u32_e64 v2, s[2:3], s2, v0
	s_lshl_b64 s[10:11], s[18:19], 7
	v_cmp_gt_i32_e64 s[0:1], s37, v10
	v_addc_co_u32_e64 v3, s[2:3], v3, v1, s[2:3]
	s_mov_b64 s[14:15], 0
	s_xor_b64 s[16:17], vcc, -1
	v_mov_b32_e32 v14, s11
	v_mov_b32_e32 v0, v5
	;; [unrolled: 1-line block ×3, first 2 shown]
	s_branch .LBB1_13
.LBB1_11:                               ;   in Loop: Header=BB1_13 Depth=1
	s_or_b64 exec, exec, s[6:7]
	global_load_dwordx2 v[16:17], v[2:3], off
	global_load_dword v18, v[6:7], off
	s_waitcnt vmcnt(1)
	v_pk_mul_f32 v[6:7], v[4:5], v[16:17] op_sel_hi:[0,1]
	s_waitcnt vmcnt(0)
	v_pk_fma_f32 v[20:21], v[18:19], v[16:17], v[6:7] op_sel:[0,0,1] op_sel_hi:[1,1,0] neg_lo:[0,0,1] neg_hi:[0,0,1]
	v_pk_fma_f32 v[6:7], v[18:19], v[16:17], v[6:7] op_sel:[0,0,1] op_sel_hi:[0,1,0]
	v_mov_b32_e32 v21, v7
	v_pk_add_f32 v[0:1], v[0:1], v[20:21]
.LBB1_12:                               ;   in Loop: Header=BB1_13 Depth=1
	s_or_b64 exec, exec, s[18:19]
	v_add_u32_e32 v12, 16, v12
	v_cmp_le_i32_e64 s[2:3], s37, v12
	s_or_b64 s[14:15], s[2:3], s[14:15]
	v_add_co_u32_e64 v2, s[2:3], s10, v2
	v_addc_co_u32_e64 v3, s[2:3], v3, v14, s[2:3]
	s_andn2_b64 exec, exec, s[14:15]
	s_cbranch_execz .LBB1_16
.LBB1_13:                               ; =>This Inner Loop Header: Depth=1
	s_and_saveexec_b64 s[18:19], s[0:1]
	s_cbranch_execz .LBB1_12
; %bb.14:                               ;   in Loop: Header=BB1_13 Depth=1
	v_cmp_le_i32_e64 s[2:3], v10, v12
	s_or_b64 s[4:5], s[2:3], s[16:17]
	v_cmp_ge_i32_e64 s[2:3], v10, v12
	s_or_b64 s[2:3], s[2:3], vcc
	s_and_b64 s[2:3], s[4:5], s[2:3]
	v_cndmask_b32_e64 v7, v10, v12, s[2:3]
	v_sub_u32_e32 v15, s24, v7
	v_add_u32_e32 v16, 1, v7
	v_cndmask_b32_e64 v4, v12, v10, s[2:3]
	v_cndmask_b32_e64 v6, v7, 0, vcc
	v_cndmask_b32_e32 v15, v15, v16, vcc
	v_sub_u32_e32 v6, v4, v6
	v_mul_hi_i32 v4, v15, v7
	v_lshrrev_b32_e32 v4, 31, v4
	v_mad_i64_i32 v[16:17], s[4:5], v15, v7, v[4:5]
	v_lshlrev_b64 v[16:17], 2, v[16:17]
	v_and_b32_e32 v4, -8, v16
	v_ashrrev_i32_e32 v7, 31, v6
	v_mov_b32_e32 v15, s23
	v_add_co_u32_e64 v4, s[6:7], s22, v4
	v_addc_co_u32_e64 v15, s[6:7], v15, v17, s[6:7]
	v_lshlrev_b64 v[6:7], 3, v[6:7]
	v_add_co_u32_e64 v6, s[6:7], v4, v6
	v_cmp_ne_u32_e64 s[4:5], v13, v12
	v_addc_co_u32_e64 v7, s[6:7], v15, v7, s[6:7]
	v_mov_b32_e32 v4, 0
	s_and_saveexec_b64 s[6:7], s[4:5]
	s_cbranch_execz .LBB1_11
; %bb.15:                               ;   in Loop: Header=BB1_13 Depth=1
	global_load_dword v4, v[6:7], off offset:4
	s_waitcnt vmcnt(0)
	v_cndmask_b32_e64 v4, -v4, v4, s[2:3]
	s_branch .LBB1_11
.LBB1_16:
	s_or_b64 exec, exec, s[14:15]
.LBB1_17:
	s_or_b64 exec, exec, s[8:9]
	s_mov_b32 s0, 0x1ffc0
	v_and_or_b32 v2, v9, s0, v11
	v_cmp_gt_u32_e32 vcc, 64, v9
	v_cmp_gt_i32_e64 s[0:1], s37, v10
	v_lshlrev_b32_e32 v2, 3, v2
	s_and_b64 s[0:1], vcc, s[0:1]
	ds_write_b64 v2, v[0:1]
	s_waitcnt lgkmcnt(0)
	s_barrier
	s_and_saveexec_b64 s[2:3], s[0:1]
	s_cbranch_execz .LBB1_22
; %bb.18:
	v_lshlrev_b32_e32 v6, 3, v9
	v_lshlrev_b32_e32 v4, 3, v8
	ds_read_b64 v[0:1], v6
	ds_read_b64 v[2:3], v4 offset:512
	v_mov_b32_e32 v5, 0
	s_ashr_i32 s1, s37, 31
	s_mov_b32 s0, s37
	s_waitcnt lgkmcnt(0)
	v_pk_add_f32 v[0:1], v[0:1], v[2:3]
	ds_write_b64 v6, v[0:1]
	ds_read_b64 v[2:3], v4 offset:1024
	s_waitcnt lgkmcnt(0)
	v_pk_add_f32 v[0:1], v[0:1], v[2:3]
	ds_write_b64 v6, v[0:1]
	ds_read_b64 v[2:3], v4 offset:1536
	;; [unrolled: 4-line block ×14, first 2 shown]
	v_or_b32_e32 v4, s41, v8
	v_cmp_gt_i64_e32 vcc, s[0:1], v[4:5]
	s_waitcnt lgkmcnt(0)
	v_pk_add_f32 v[2:3], v[0:1], v[2:3]
	ds_write_b64 v6, v[2:3]
	s_and_b64 exec, exec, vcc
	s_cbranch_execz .LBB1_22
; %bb.19:
	v_pk_mul_f32 v[6:7], v[2:3], s[38:39] op_sel:[1,0]
	v_pk_fma_f32 v[0:1], v[2:3], s[38:39], v[6:7] op_sel:[0,0,1] op_sel_hi:[0,1,0] neg_lo:[0,0,1] neg_hi:[0,0,1]
	v_pk_fma_f32 v[2:3], v[2:3], s[38:39], v[6:7] op_sel:[0,0,1] op_sel_hi:[0,1,0]
	v_mad_u64_u32 v[6:7], s[4:5], v4, s12, 0
	v_mov_b32_e32 v2, v7
	v_cmp_neq_f32_e64 s[0:1], s34, 0
	v_cmp_neq_f32_e64 s[2:3], s35, 0
	v_mad_u64_u32 v[4:5], s[4:5], v4, s13, v[2:3]
	v_mov_b32_e32 v7, v4
	s_or_b64 s[0:1], s[0:1], s[2:3]
	s_andn2_b64 vcc, exec, s[0:1]
	v_lshlrev_b64 v[4:5], 3, v[6:7]
	s_cbranch_vccnz .LBB1_21
; %bb.20:
	v_mov_b32_e32 v1, s40
	v_add_co_u32_e32 v6, vcc, s33, v4
	v_addc_co_u32_e32 v7, vcc, v1, v5, vcc
	global_load_dwordx2 v[6:7], v[6:7], off
	v_mov_b32_e32 v1, v3
	s_waitcnt vmcnt(0)
	v_pk_mul_f32 v[2:3], s[34:35], v[6:7] op_sel:[0,1]
	v_pk_fma_f32 v[8:9], s[34:35], v[6:7], v[2:3] op_sel:[0,0,1] op_sel_hi:[1,1,0] neg_lo:[0,0,1] neg_hi:[0,0,1]
	v_pk_fma_f32 v[2:3], s[34:35], v[6:7], v[2:3] op_sel:[0,0,1] op_sel_hi:[1,0,0]
	v_mov_b32_e32 v9, v3
	v_pk_add_f32 v[0:1], v[0:1], v[8:9]
	v_mov_b32_e32 v3, v1
.LBB1_21:
	v_mov_b32_e32 v1, s40
	v_add_co_u32_e32 v4, vcc, s33, v4
	v_addc_co_u32_e32 v5, vcc, v1, v5, vcc
	v_mov_b32_e32 v1, v3
	global_store_dwordx2 v[4:5], v[0:1], off
.LBB1_22:
	s_endpgm
	.section	.rodata,"a",@progbits
	.p2align	6, 0x0
	.amdhsa_kernel _ZL19rocblas_hpmv_kernelILi64ELi16E19rocblas_complex_numIfEPKS1_PS1_EvbiT1_T2_llS6_lllS5_T3_llli
		.amdhsa_group_segment_fixed_size 8192
		.amdhsa_private_segment_fixed_size 0
		.amdhsa_kernarg_size 116
		.amdhsa_user_sgpr_count 6
		.amdhsa_user_sgpr_private_segment_buffer 1
		.amdhsa_user_sgpr_dispatch_ptr 0
		.amdhsa_user_sgpr_queue_ptr 0
		.amdhsa_user_sgpr_kernarg_segment_ptr 1
		.amdhsa_user_sgpr_dispatch_id 0
		.amdhsa_user_sgpr_flat_scratch_init 0
		.amdhsa_user_sgpr_kernarg_preload_length 0
		.amdhsa_user_sgpr_kernarg_preload_offset 0
		.amdhsa_user_sgpr_private_segment_size 0
		.amdhsa_uses_dynamic_stack 0
		.amdhsa_system_sgpr_private_segment_wavefront_offset 0
		.amdhsa_system_sgpr_workgroup_id_x 1
		.amdhsa_system_sgpr_workgroup_id_y 0
		.amdhsa_system_sgpr_workgroup_id_z 1
		.amdhsa_system_sgpr_workgroup_info 0
		.amdhsa_system_vgpr_workitem_id 1
		.amdhsa_next_free_vgpr 22
		.amdhsa_next_free_sgpr 42
		.amdhsa_accum_offset 24
		.amdhsa_reserve_vcc 1
		.amdhsa_reserve_flat_scratch 0
		.amdhsa_float_round_mode_32 0
		.amdhsa_float_round_mode_16_64 0
		.amdhsa_float_denorm_mode_32 3
		.amdhsa_float_denorm_mode_16_64 3
		.amdhsa_dx10_clamp 1
		.amdhsa_ieee_mode 1
		.amdhsa_fp16_overflow 0
		.amdhsa_tg_split 0
		.amdhsa_exception_fp_ieee_invalid_op 0
		.amdhsa_exception_fp_denorm_src 0
		.amdhsa_exception_fp_ieee_div_zero 0
		.amdhsa_exception_fp_ieee_overflow 0
		.amdhsa_exception_fp_ieee_underflow 0
		.amdhsa_exception_fp_ieee_inexact 0
		.amdhsa_exception_int_div_zero 0
	.end_amdhsa_kernel
	.section	.text._ZL19rocblas_hpmv_kernelILi64ELi16E19rocblas_complex_numIfEPKS1_PS1_EvbiT1_T2_llS6_lllS5_T3_llli,"axG",@progbits,_ZL19rocblas_hpmv_kernelILi64ELi16E19rocblas_complex_numIfEPKS1_PS1_EvbiT1_T2_llS6_lllS5_T3_llli,comdat
.Lfunc_end1:
	.size	_ZL19rocblas_hpmv_kernelILi64ELi16E19rocblas_complex_numIfEPKS1_PS1_EvbiT1_T2_llS6_lllS5_T3_llli, .Lfunc_end1-_ZL19rocblas_hpmv_kernelILi64ELi16E19rocblas_complex_numIfEPKS1_PS1_EvbiT1_T2_llS6_lllS5_T3_llli
                                        ; -- End function
	.section	.AMDGPU.csdata,"",@progbits
; Kernel info:
; codeLenInByte = 1648
; NumSgprs: 46
; NumVgprs: 22
; NumAgprs: 0
; TotalNumVgprs: 22
; ScratchSize: 0
; MemoryBound: 0
; FloatMode: 240
; IeeeMode: 1
; LDSByteSize: 8192 bytes/workgroup (compile time only)
; SGPRBlocks: 5
; VGPRBlocks: 2
; NumSGPRsForWavesPerEU: 46
; NumVGPRsForWavesPerEU: 22
; AccumOffset: 24
; Occupancy: 8
; WaveLimiterHint : 1
; COMPUTE_PGM_RSRC2:SCRATCH_EN: 0
; COMPUTE_PGM_RSRC2:USER_SGPR: 6
; COMPUTE_PGM_RSRC2:TRAP_HANDLER: 0
; COMPUTE_PGM_RSRC2:TGID_X_EN: 1
; COMPUTE_PGM_RSRC2:TGID_Y_EN: 0
; COMPUTE_PGM_RSRC2:TGID_Z_EN: 1
; COMPUTE_PGM_RSRC2:TIDIG_COMP_CNT: 1
; COMPUTE_PGM_RSRC3_GFX90A:ACCUM_OFFSET: 5
; COMPUTE_PGM_RSRC3_GFX90A:TG_SPLIT: 0
	.section	.text._ZL19rocblas_hpmv_kernelILi64ELi16EPK19rocblas_complex_numIdES3_PS1_EvbiT1_T2_llS6_lllS5_T3_llli,"axG",@progbits,_ZL19rocblas_hpmv_kernelILi64ELi16EPK19rocblas_complex_numIdES3_PS1_EvbiT1_T2_llS6_lllS5_T3_llli,comdat
	.globl	_ZL19rocblas_hpmv_kernelILi64ELi16EPK19rocblas_complex_numIdES3_PS1_EvbiT1_T2_llS6_lllS5_T3_llli ; -- Begin function _ZL19rocblas_hpmv_kernelILi64ELi16EPK19rocblas_complex_numIdES3_PS1_EvbiT1_T2_llS6_lllS5_T3_llli
	.p2align	8
	.type	_ZL19rocblas_hpmv_kernelILi64ELi16EPK19rocblas_complex_numIdES3_PS1_EvbiT1_T2_llS6_lllS5_T3_llli,@function
_ZL19rocblas_hpmv_kernelILi64ELi16EPK19rocblas_complex_numIdES3_PS1_EvbiT1_T2_llS6_lllS5_T3_llli: ; @_ZL19rocblas_hpmv_kernelILi64ELi16EPK19rocblas_complex_numIdES3_PS1_EvbiT1_T2_llS6_lllS5_T3_llli
; %bb.0:
	s_load_dwordx16 s[8:23], s[4:5], 0x8
	s_load_dwordx8 s[24:31], s[4:5], 0x48
	s_waitcnt lgkmcnt(0)
	s_load_dwordx4 s[40:43], s[8:9], 0x0
	s_load_dwordx4 s[36:39], s[24:25], 0x0
	s_waitcnt lgkmcnt(0)
	v_cmp_neq_f64_e64 s[0:1], s[40:41], 0
	v_cmp_neq_f64_e64 s[2:3], s[42:43], 0
	s_or_b64 s[0:1], s[0:1], s[2:3]
	s_mov_b64 s[2:3], -1
	s_and_b64 vcc, exec, s[0:1]
	s_cbranch_vccnz .LBB2_2
; %bb.1:
	v_cmp_neq_f64_e64 s[2:3], s[36:37], 1.0
	v_cmp_neq_f64_e64 s[8:9], s[38:39], 0
	s_or_b64 s[2:3], s[2:3], s[8:9]
.LBB2_2:
	s_andn2_b64 vcc, exec, s[2:3]
	s_cbranch_vccnz .LBB2_29
; %bb.3:
	s_load_dwordx2 s[2:3], s[4:5], 0x68
	s_load_dwordx2 s[8:9], s[4:5], 0x0
	s_xor_b64 s[0:1], s[0:1], -1
	v_and_b32_e32 v12, 0x3ff, v0
	v_bfe_u32 v0, v0, 10, 10
	s_waitcnt lgkmcnt(0)
	s_mul_i32 s3, s7, s3
	s_mul_hi_u32 s4, s7, s2
	s_mul_i32 s2, s7, s2
	s_add_i32 s3, s4, s3
	s_lshl_b64 s[2:3], s[2:3], 4
	s_add_u32 s4, s26, s2
	s_addc_u32 s5, s27, s3
	s_lshl_b64 s[2:3], s[28:29], 4
	s_add_u32 s28, s4, s2
	s_addc_u32 s29, s5, s3
	v_and_b32_e32 v15, 63, v12
	s_lshl_b32 s33, s6, 6
	v_lshl_add_u32 v13, v0, 6, v12
	v_or_b32_e32 v14, s33, v15
	s_andn2_b64 vcc, exec, s[0:1]
	v_cmp_gt_i32_e64 s[0:1], s9, v14
	v_cmp_gt_u32_e64 s[2:3], 64, v13
	s_cbranch_vccnz .LBB2_10
; %bb.4:
	s_and_b64 s[4:5], s[2:3], s[0:1]
	s_mov_b64 s[0:1], 0
	s_mov_b64 s[24:25], 0
                                        ; implicit-def: $vgpr2_vgpr3
                                        ; implicit-def: $vgpr8_vgpr9
	s_and_saveexec_b64 s[2:3], s[4:5]
	s_cbranch_execz .LBB2_11
; %bb.5:
	v_or_b32_e32 v0, s33, v12
	v_cmp_gt_i32_e32 vcc, s9, v0
                                        ; implicit-def: $vgpr2_vgpr3
                                        ; implicit-def: $vgpr8_vgpr9
	s_and_saveexec_b64 s[4:5], vcc
	s_cbranch_execz .LBB2_9
; %bb.6:
	v_cmp_neq_f64_e64 s[24:25], s[36:37], 0
	v_cmp_neq_f64_e64 s[26:27], s[38:39], 0
	v_ashrrev_i32_e32 v1, 31, v0
	v_pk_mov_b32 v[2:3], 0, 0
	v_mul_lo_u32 v4, v0, s31
	v_mul_lo_u32 v1, v1, s30
	v_mad_u64_u32 v[8:9], s[34:35], v0, s30, 0
	s_or_b64 s[24:25], s[24:25], s[26:27]
	v_add3_u32 v9, v9, v4, v1
	s_andn2_b64 vcc, exec, s[24:25]
	v_pk_mov_b32 v[0:1], v[2:3], v[2:3] op_sel:[0,1]
	s_cbranch_vccnz .LBB2_8
; %bb.7:
	v_lshlrev_b64 v[0:1], 4, v[8:9]
	v_mov_b32_e32 v2, s29
	v_add_co_u32_e32 v0, vcc, s28, v0
	v_addc_co_u32_e32 v1, vcc, v2, v1, vcc
	global_load_dwordx4 v[4:7], v[0:1], off
	s_waitcnt vmcnt(0)
	v_mul_f64 v[0:1], s[38:39], v[6:7]
	v_mul_f64 v[2:3], s[36:37], v[6:7]
	v_fma_f64 v[0:1], s[36:37], v[4:5], -v[0:1]
	v_fmac_f64_e32 v[2:3], s[38:39], v[4:5]
.LBB2_8:
	s_mov_b64 s[24:25], exec
.LBB2_9:
	s_or_b64 exec, exec, s[4:5]
	s_and_b64 s[24:25], s[24:25], exec
	s_or_b64 exec, exec, s[2:3]
	s_and_b64 vcc, exec, s[0:1]
	s_cbranch_vccnz .LBB2_12
	s_branch .LBB2_27
.LBB2_10:
	s_mov_b64 s[24:25], 0
                                        ; implicit-def: $vgpr2_vgpr3
                                        ; implicit-def: $vgpr8_vgpr9
	s_cbranch_execnz .LBB2_12
	s_branch .LBB2_27
.LBB2_11:
	s_or_b64 exec, exec, s[2:3]
	s_and_b64 vcc, exec, s[0:1]
	s_cbranch_vccz .LBB2_27
.LBB2_12:
	v_lshrrev_b32_e32 v16, 6, v13
	v_pk_mov_b32 v[2:3], 0, 0
	v_cmp_gt_i32_e32 vcc, s9, v16
	v_pk_mov_b32 v[0:1], v[2:3], v[2:3] op_sel:[0,1]
	s_and_saveexec_b64 s[26:27], vcc
	s_cbranch_execz .LBB2_20
; %bb.13:
	s_mul_i32 s0, s7, s15
	s_mul_hi_u32 s1, s7, s14
	s_add_i32 s1, s1, s0
	s_mul_i32 s0, s7, s14
	s_lshl_b64 s[0:1], s[0:1], 4
	s_add_u32 s2, s10, s0
	s_addc_u32 s3, s11, s1
	s_lshl_b64 s[0:1], s[12:13], 4
	s_add_u32 s34, s2, s0
	s_addc_u32 s35, s3, s1
	s_bitcmp1_b32 s8, 0
	s_cselect_b64 vcc, -1, 0
	s_lshl_b32 s2, s9, 1
	v_lshrrev_b32_e32 v3, 6, v13
	s_or_b32 s8, s2, 1
	v_mad_u64_u32 v[0:1], s[2:3], s20, v3, 0
	v_mov_b32_e32 v2, v1
	v_mad_u64_u32 v[2:3], s[2:3], s21, v3, v[2:3]
	s_mul_i32 s2, s23, s7
	s_mul_hi_u32 s3, s22, s7
	s_add_i32 s3, s3, s2
	s_mul_i32 s2, s22, s7
	s_lshl_b64 s[2:3], s[2:3], 4
	s_lshl_b64 s[4:5], s[18:19], 4
	s_add_u32 s4, s16, s4
	s_addc_u32 s5, s17, s5
	v_mov_b32_e32 v1, v2
	s_add_u32 s2, s4, s2
	v_lshlrev_b64 v[0:1], 4, v[0:1]
	s_addc_u32 s3, s5, s3
	v_mov_b32_e32 v2, s3
	v_add_co_u32_e64 v0, s[2:3], s2, v0
	v_addc_co_u32_e64 v1, s[2:3], v2, v1, s[2:3]
	v_add_co_u32_e64 v4, s[2:3], 8, v0
	v_pk_mov_b32 v[2:3], 0, 0
	v_cmp_gt_i32_e64 s[0:1], s9, v14
	v_addc_co_u32_e64 v5, s[2:3], 0, v1, s[2:3]
	s_lshl_b64 s[10:11], s[20:21], 8
	v_add_u32_e32 v17, s33, v15
	s_mov_b64 s[12:13], 0
	s_xor_b64 s[14:15], vcc, -1
	v_mov_b32_e32 v7, 0
	v_pk_mov_b32 v[0:1], v[2:3], v[2:3] op_sel:[0,1]
	s_branch .LBB2_16
.LBB2_14:                               ;   in Loop: Header=BB2_16 Depth=1
	s_or_b64 exec, exec, s[6:7]
	global_load_dwordx4 v[18:21], v[4:5], off offset:-8
	global_load_dwordx2 v[22:23], v[10:11], off
	s_waitcnt vmcnt(1)
	v_mul_f64 v[10:11], v[8:9], v[20:21]
	s_waitcnt vmcnt(0)
	v_mul_f64 v[20:21], v[22:23], v[20:21]
	v_fma_f64 v[10:11], v[22:23], v[18:19], -v[10:11]
	v_fmac_f64_e32 v[20:21], v[8:9], v[18:19]
	v_add_f64 v[0:1], v[0:1], v[10:11]
	v_add_f64 v[2:3], v[2:3], v[20:21]
.LBB2_15:                               ;   in Loop: Header=BB2_16 Depth=1
	s_or_b64 exec, exec, s[16:17]
	v_add_u32_e32 v16, 16, v16
	v_cmp_le_i32_e64 s[2:3], s9, v16
	v_mov_b32_e32 v6, s11
	s_or_b64 s[12:13], s[2:3], s[12:13]
	v_add_co_u32_e64 v4, s[2:3], s10, v4
	v_addc_co_u32_e64 v5, s[2:3], v5, v6, s[2:3]
	s_andn2_b64 exec, exec, s[12:13]
	s_cbranch_execz .LBB2_19
.LBB2_16:                               ; =>This Inner Loop Header: Depth=1
	s_and_saveexec_b64 s[16:17], s[0:1]
	s_cbranch_execz .LBB2_15
; %bb.17:                               ;   in Loop: Header=BB2_16 Depth=1
	v_cmp_le_i32_e64 s[2:3], v14, v16
	s_or_b64 s[4:5], s[2:3], s[14:15]
	v_cmp_ge_i32_e64 s[2:3], v14, v16
	s_or_b64 s[2:3], s[2:3], vcc
	s_and_b64 s[2:3], s[4:5], s[2:3]
	v_cndmask_b32_e64 v9, v14, v16, s[2:3]
	v_sub_u32_e32 v10, s8, v9
	v_add_u32_e32 v11, 1, v9
	v_cndmask_b32_e64 v6, v16, v14, s[2:3]
	v_cndmask_b32_e64 v8, v9, 0, vcc
	v_cndmask_b32_e32 v10, v10, v11, vcc
	v_sub_u32_e32 v8, v6, v8
	v_mul_hi_i32 v6, v10, v9
	v_lshrrev_b32_e32 v6, 31, v6
	v_mad_i64_i32 v[10:11], s[4:5], v10, v9, v[6:7]
	v_lshlrev_b64 v[10:11], 3, v[10:11]
	v_and_b32_e32 v6, -16, v10
	v_ashrrev_i32_e32 v9, 31, v8
	v_mov_b32_e32 v10, s35
	v_add_co_u32_e64 v6, s[6:7], s34, v6
	v_addc_co_u32_e64 v11, s[6:7], v10, v11, s[6:7]
	v_lshlrev_b64 v[8:9], 4, v[8:9]
	v_add_co_u32_e64 v10, s[6:7], v6, v8
	v_cmp_ne_u32_e64 s[4:5], v17, v16
	v_addc_co_u32_e64 v11, s[6:7], v11, v9, s[6:7]
	v_pk_mov_b32 v[8:9], 0, 0
	s_and_saveexec_b64 s[6:7], s[4:5]
	s_cbranch_execz .LBB2_14
; %bb.18:                               ;   in Loop: Header=BB2_16 Depth=1
	global_load_dwordx2 v[8:9], v[10:11], off offset:8
	s_waitcnt vmcnt(0)
	v_xor_b32_e32 v6, 0x80000000, v9
	v_cndmask_b32_e64 v9, v6, v9, s[2:3]
	v_cndmask_b32_e64 v8, v8, v8, s[2:3]
	s_branch .LBB2_14
.LBB2_19:
	s_or_b64 exec, exec, s[12:13]
.LBB2_20:
	s_or_b64 exec, exec, s[26:27]
	s_mov_b32 s0, 0x1ffc0
	v_and_or_b32 v4, v13, s0, v15
	v_cmp_gt_u32_e32 vcc, 64, v13
	v_cmp_gt_i32_e64 s[0:1], s9, v14
	v_lshlrev_b32_e32 v4, 4, v4
	s_and_b64 s[2:3], vcc, s[0:1]
	ds_write_b128 v4, v[0:3]
	s_waitcnt lgkmcnt(0)
	s_barrier
	s_waitcnt lgkmcnt(0)
                                        ; implicit-def: $vgpr2_vgpr3
                                        ; implicit-def: $vgpr8_vgpr9
	s_and_saveexec_b64 s[0:1], s[2:3]
	s_cbranch_execz .LBB2_26
; %bb.21:
	v_lshlrev_b32_e32 v0, 4, v13
	v_lshlrev_b32_e32 v1, 4, v12
	ds_read_b128 v[2:5], v0
	ds_read_b128 v[6:9], v1 offset:1024
	v_or_b32_e32 v10, s33, v12
	v_mov_b32_e32 v11, 0
	s_ashr_i32 s3, s9, 31
	s_mov_b32 s2, s9
	s_waitcnt lgkmcnt(0)
	v_add_f64 v[2:3], v[2:3], v[6:7]
	v_add_f64 v[4:5], v[4:5], v[8:9]
	ds_write_b128 v0, v[2:5]
	ds_read_b128 v[6:9], v1 offset:2048
	v_cmp_gt_i64_e32 vcc, s[2:3], v[10:11]
	s_mov_b64 s[4:5], s[24:25]
	s_waitcnt lgkmcnt(0)
	v_add_f64 v[2:3], v[2:3], v[6:7]
	v_add_f64 v[4:5], v[4:5], v[8:9]
	ds_write_b128 v0, v[2:5]
	ds_read_b128 v[6:9], v1 offset:3072
	s_waitcnt lgkmcnt(0)
	v_add_f64 v[2:3], v[2:3], v[6:7]
	v_add_f64 v[4:5], v[4:5], v[8:9]
	ds_write_b128 v0, v[2:5]
	ds_read_b128 v[6:9], v1 offset:4096
	;; [unrolled: 5-line block ×13, first 2 shown]
                                        ; implicit-def: $vgpr2_vgpr3
	s_waitcnt lgkmcnt(0)
	v_add_f64 v[4:5], v[6:7], v[12:13]
	v_add_f64 v[6:7], v[8:9], v[14:15]
	ds_write_b128 v0, v[4:7]
                                        ; implicit-def: $vgpr8_vgpr9
	s_and_saveexec_b64 s[2:3], vcc
	s_cbranch_execz .LBB2_25
; %bb.22:
	v_mul_f64 v[0:1], s[42:43], v[6:7]
	v_mul_f64 v[2:3], s[40:41], v[6:7]
	v_mad_u64_u32 v[8:9], s[8:9], v10, s30, 0
	v_cmp_neq_f64_e64 s[4:5], s[36:37], 0
	v_cmp_neq_f64_e64 s[6:7], s[38:39], 0
	v_fma_f64 v[0:1], s[40:41], v[4:5], -v[0:1]
	v_fmac_f64_e32 v[2:3], s[42:43], v[4:5]
	v_mov_b32_e32 v4, v9
	v_mad_u64_u32 v[4:5], s[8:9], v10, s31, v[4:5]
	s_or_b64 s[4:5], s[4:5], s[6:7]
	s_andn2_b64 vcc, exec, s[4:5]
	v_mov_b32_e32 v9, v4
	s_cbranch_vccnz .LBB2_24
; %bb.23:
	v_lshlrev_b64 v[4:5], 4, v[8:9]
	v_mov_b32_e32 v6, s29
	v_add_co_u32_e32 v4, vcc, s28, v4
	v_addc_co_u32_e32 v5, vcc, v6, v5, vcc
	global_load_dwordx4 v[4:7], v[4:5], off
	s_waitcnt vmcnt(0)
	v_mul_f64 v[10:11], s[38:39], v[6:7]
	v_mul_f64 v[6:7], s[36:37], v[6:7]
	v_fma_f64 v[10:11], s[36:37], v[4:5], -v[10:11]
	v_fmac_f64_e32 v[6:7], s[38:39], v[4:5]
	v_add_f64 v[0:1], v[0:1], v[10:11]
	v_add_f64 v[2:3], v[2:3], v[6:7]
.LBB2_24:
	s_or_b64 s[4:5], s[24:25], exec
.LBB2_25:
	s_or_b64 exec, exec, s[2:3]
	s_andn2_b64 s[2:3], s[24:25], exec
	s_and_b64 s[4:5], s[4:5], exec
	s_or_b64 s[24:25], s[2:3], s[4:5]
.LBB2_26:
	s_or_b64 exec, exec, s[0:1]
.LBB2_27:
	s_and_saveexec_b64 s[0:1], s[24:25]
	s_cbranch_execz .LBB2_29
; %bb.28:
	v_lshlrev_b64 v[4:5], 4, v[8:9]
	v_mov_b32_e32 v6, s29
	v_add_co_u32_e32 v4, vcc, s28, v4
	v_addc_co_u32_e32 v5, vcc, v6, v5, vcc
	global_store_dwordx4 v[4:5], v[0:3], off
.LBB2_29:
	s_endpgm
	.section	.rodata,"a",@progbits
	.p2align	6, 0x0
	.amdhsa_kernel _ZL19rocblas_hpmv_kernelILi64ELi16EPK19rocblas_complex_numIdES3_PS1_EvbiT1_T2_llS6_lllS5_T3_llli
		.amdhsa_group_segment_fixed_size 16384
		.amdhsa_private_segment_fixed_size 0
		.amdhsa_kernarg_size 116
		.amdhsa_user_sgpr_count 6
		.amdhsa_user_sgpr_private_segment_buffer 1
		.amdhsa_user_sgpr_dispatch_ptr 0
		.amdhsa_user_sgpr_queue_ptr 0
		.amdhsa_user_sgpr_kernarg_segment_ptr 1
		.amdhsa_user_sgpr_dispatch_id 0
		.amdhsa_user_sgpr_flat_scratch_init 0
		.amdhsa_user_sgpr_kernarg_preload_length 0
		.amdhsa_user_sgpr_kernarg_preload_offset 0
		.amdhsa_user_sgpr_private_segment_size 0
		.amdhsa_uses_dynamic_stack 0
		.amdhsa_system_sgpr_private_segment_wavefront_offset 0
		.amdhsa_system_sgpr_workgroup_id_x 1
		.amdhsa_system_sgpr_workgroup_id_y 0
		.amdhsa_system_sgpr_workgroup_id_z 1
		.amdhsa_system_sgpr_workgroup_info 0
		.amdhsa_system_vgpr_workitem_id 1
		.amdhsa_next_free_vgpr 24
		.amdhsa_next_free_sgpr 44
		.amdhsa_accum_offset 24
		.amdhsa_reserve_vcc 1
		.amdhsa_reserve_flat_scratch 0
		.amdhsa_float_round_mode_32 0
		.amdhsa_float_round_mode_16_64 0
		.amdhsa_float_denorm_mode_32 3
		.amdhsa_float_denorm_mode_16_64 3
		.amdhsa_dx10_clamp 1
		.amdhsa_ieee_mode 1
		.amdhsa_fp16_overflow 0
		.amdhsa_tg_split 0
		.amdhsa_exception_fp_ieee_invalid_op 0
		.amdhsa_exception_fp_denorm_src 0
		.amdhsa_exception_fp_ieee_div_zero 0
		.amdhsa_exception_fp_ieee_overflow 0
		.amdhsa_exception_fp_ieee_underflow 0
		.amdhsa_exception_fp_ieee_inexact 0
		.amdhsa_exception_int_div_zero 0
	.end_amdhsa_kernel
	.section	.text._ZL19rocblas_hpmv_kernelILi64ELi16EPK19rocblas_complex_numIdES3_PS1_EvbiT1_T2_llS6_lllS5_T3_llli,"axG",@progbits,_ZL19rocblas_hpmv_kernelILi64ELi16EPK19rocblas_complex_numIdES3_PS1_EvbiT1_T2_llS6_lllS5_T3_llli,comdat
.Lfunc_end2:
	.size	_ZL19rocblas_hpmv_kernelILi64ELi16EPK19rocblas_complex_numIdES3_PS1_EvbiT1_T2_llS6_lllS5_T3_llli, .Lfunc_end2-_ZL19rocblas_hpmv_kernelILi64ELi16EPK19rocblas_complex_numIdES3_PS1_EvbiT1_T2_llS6_lllS5_T3_llli
                                        ; -- End function
	.section	.AMDGPU.csdata,"",@progbits
; Kernel info:
; codeLenInByte = 1920
; NumSgprs: 48
; NumVgprs: 24
; NumAgprs: 0
; TotalNumVgprs: 24
; ScratchSize: 0
; MemoryBound: 0
; FloatMode: 240
; IeeeMode: 1
; LDSByteSize: 16384 bytes/workgroup (compile time only)
; SGPRBlocks: 5
; VGPRBlocks: 2
; NumSGPRsForWavesPerEU: 48
; NumVGPRsForWavesPerEU: 24
; AccumOffset: 24
; Occupancy: 8
; WaveLimiterHint : 0
; COMPUTE_PGM_RSRC2:SCRATCH_EN: 0
; COMPUTE_PGM_RSRC2:USER_SGPR: 6
; COMPUTE_PGM_RSRC2:TRAP_HANDLER: 0
; COMPUTE_PGM_RSRC2:TGID_X_EN: 1
; COMPUTE_PGM_RSRC2:TGID_Y_EN: 0
; COMPUTE_PGM_RSRC2:TGID_Z_EN: 1
; COMPUTE_PGM_RSRC2:TIDIG_COMP_CNT: 1
; COMPUTE_PGM_RSRC3_GFX90A:ACCUM_OFFSET: 5
; COMPUTE_PGM_RSRC3_GFX90A:TG_SPLIT: 0
	.section	.text._ZL19rocblas_hpmv_kernelILi64ELi16E19rocblas_complex_numIdEPKS1_PS1_EvbiT1_T2_llS6_lllS5_T3_llli,"axG",@progbits,_ZL19rocblas_hpmv_kernelILi64ELi16E19rocblas_complex_numIdEPKS1_PS1_EvbiT1_T2_llS6_lllS5_T3_llli,comdat
	.globl	_ZL19rocblas_hpmv_kernelILi64ELi16E19rocblas_complex_numIdEPKS1_PS1_EvbiT1_T2_llS6_lllS5_T3_llli ; -- Begin function _ZL19rocblas_hpmv_kernelILi64ELi16E19rocblas_complex_numIdEPKS1_PS1_EvbiT1_T2_llS6_lllS5_T3_llli
	.p2align	8
	.type	_ZL19rocblas_hpmv_kernelILi64ELi16E19rocblas_complex_numIdEPKS1_PS1_EvbiT1_T2_llS6_lllS5_T3_llli,@function
_ZL19rocblas_hpmv_kernelILi64ELi16E19rocblas_complex_numIdEPKS1_PS1_EvbiT1_T2_llS6_lllS5_T3_llli: ; @_ZL19rocblas_hpmv_kernelILi64ELi16E19rocblas_complex_numIdEPKS1_PS1_EvbiT1_T2_llS6_lllS5_T3_llli
; %bb.0:
	s_load_dwordx16 s[8:23], s[4:5], 0x8
	s_load_dwordx8 s[24:31], s[4:5], 0x48
	s_waitcnt lgkmcnt(0)
	v_cmp_neq_f64_e64 s[0:1], s[8:9], 0
	v_cmp_neq_f64_e64 s[2:3], s[10:11], 0
	s_or_b64 s[0:1], s[0:1], s[2:3]
	s_mov_b64 s[2:3], -1
	s_and_b64 vcc, exec, s[0:1]
	s_cbranch_vccnz .LBB3_2
; %bb.1:
	v_cmp_neq_f64_e64 s[2:3], s[26:27], 1.0
	v_cmp_neq_f64_e64 s[34:35], s[28:29], 0
	s_or_b64 s[2:3], s[2:3], s[34:35]
.LBB3_2:
	s_andn2_b64 vcc, exec, s[2:3]
	s_cbranch_vccnz .LBB3_29
; %bb.3:
	s_load_dwordx2 s[2:3], s[4:5], 0x78
	s_load_dwordx4 s[36:39], s[4:5], 0x68
	s_load_dwordx2 s[34:35], s[4:5], 0x0
	s_xor_b64 s[0:1], s[0:1], -1
	v_and_b32_e32 v12, 0x3ff, v0
	s_waitcnt lgkmcnt(0)
	s_mul_i32 s3, s7, s3
	s_mul_hi_u32 s4, s7, s2
	s_mul_i32 s2, s7, s2
	s_add_i32 s3, s4, s3
	s_lshl_b64 s[2:3], s[2:3], 4
	s_add_u32 s4, s30, s2
	s_addc_u32 s5, s31, s3
	s_lshl_b64 s[2:3], s[36:37], 4
	s_add_u32 s33, s4, s2
	s_addc_u32 s40, s5, s3
	v_bfe_u32 v0, v0, 10, 10
	v_and_b32_e32 v15, 63, v12
	s_lshl_b32 s41, s6, 6
	v_lshl_add_u32 v13, v0, 6, v12
	v_or_b32_e32 v14, s41, v15
	s_andn2_b64 vcc, exec, s[0:1]
	v_cmp_gt_i32_e64 s[0:1], s35, v14
	v_cmp_gt_u32_e64 s[2:3], 64, v13
	s_cbranch_vccnz .LBB3_10
; %bb.4:
	s_and_b64 s[4:5], s[2:3], s[0:1]
	s_mov_b64 s[0:1], 0
	s_mov_b64 s[30:31], 0
                                        ; implicit-def: $vgpr2_vgpr3
                                        ; implicit-def: $vgpr8_vgpr9
	s_and_saveexec_b64 s[2:3], s[4:5]
	s_cbranch_execz .LBB3_11
; %bb.5:
	v_or_b32_e32 v0, s41, v12
	v_cmp_gt_i32_e32 vcc, s35, v0
                                        ; implicit-def: $vgpr2_vgpr3
                                        ; implicit-def: $vgpr8_vgpr9
	s_and_saveexec_b64 s[4:5], vcc
	s_cbranch_execz .LBB3_9
; %bb.6:
	v_cmp_neq_f64_e64 s[30:31], s[26:27], 0
	v_cmp_neq_f64_e64 s[36:37], s[28:29], 0
	v_ashrrev_i32_e32 v1, 31, v0
	v_pk_mov_b32 v[2:3], 0, 0
	v_mul_lo_u32 v4, v0, s39
	v_mul_lo_u32 v1, v1, s38
	v_mad_u64_u32 v[8:9], s[42:43], v0, s38, 0
	s_or_b64 s[30:31], s[30:31], s[36:37]
	v_add3_u32 v9, v9, v4, v1
	s_andn2_b64 vcc, exec, s[30:31]
	v_pk_mov_b32 v[0:1], v[2:3], v[2:3] op_sel:[0,1]
	s_cbranch_vccnz .LBB3_8
; %bb.7:
	v_lshlrev_b64 v[0:1], 4, v[8:9]
	v_mov_b32_e32 v2, s40
	v_add_co_u32_e32 v0, vcc, s33, v0
	v_addc_co_u32_e32 v1, vcc, v2, v1, vcc
	global_load_dwordx4 v[4:7], v[0:1], off
	s_waitcnt vmcnt(0)
	v_mul_f64 v[0:1], s[28:29], v[6:7]
	v_mul_f64 v[2:3], s[26:27], v[6:7]
	v_fma_f64 v[0:1], s[26:27], v[4:5], -v[0:1]
	v_fmac_f64_e32 v[2:3], s[28:29], v[4:5]
.LBB3_8:
	s_mov_b64 s[30:31], exec
.LBB3_9:
	s_or_b64 exec, exec, s[4:5]
	s_and_b64 s[30:31], s[30:31], exec
	s_or_b64 exec, exec, s[2:3]
	s_and_b64 vcc, exec, s[0:1]
	s_cbranch_vccnz .LBB3_12
	s_branch .LBB3_27
.LBB3_10:
	s_mov_b64 s[30:31], 0
                                        ; implicit-def: $vgpr2_vgpr3
                                        ; implicit-def: $vgpr8_vgpr9
	s_cbranch_execnz .LBB3_12
	s_branch .LBB3_27
.LBB3_11:
	s_or_b64 exec, exec, s[2:3]
	s_and_b64 vcc, exec, s[0:1]
	s_cbranch_vccz .LBB3_27
.LBB3_12:
	v_lshrrev_b32_e32 v16, 6, v13
	v_pk_mov_b32 v[2:3], 0, 0
	v_cmp_gt_i32_e32 vcc, s35, v16
	v_pk_mov_b32 v[0:1], v[2:3], v[2:3] op_sel:[0,1]
	s_and_saveexec_b64 s[36:37], vcc
	s_cbranch_execz .LBB3_20
; %bb.13:
	s_mul_i32 s0, s7, s17
	s_mul_hi_u32 s1, s7, s16
	s_add_i32 s1, s1, s0
	s_mul_i32 s0, s7, s16
	s_lshl_b64 s[0:1], s[0:1], 4
	s_add_u32 s2, s12, s0
	s_addc_u32 s3, s13, s1
	s_lshl_b64 s[0:1], s[14:15], 4
	s_add_u32 s42, s2, s0
	s_addc_u32 s43, s3, s1
	s_bitcmp1_b32 s34, 0
	s_cselect_b64 vcc, -1, 0
	s_lshl_b32 s2, s35, 1
	v_lshrrev_b32_e32 v3, 6, v13
	s_or_b32 s34, s2, 1
	v_mad_u64_u32 v[0:1], s[2:3], s22, v3, 0
	v_mov_b32_e32 v2, v1
	v_mad_u64_u32 v[2:3], s[2:3], s23, v3, v[2:3]
	s_mul_i32 s2, s25, s7
	s_mul_hi_u32 s3, s24, s7
	s_add_i32 s3, s3, s2
	s_mul_i32 s2, s24, s7
	s_lshl_b64 s[2:3], s[2:3], 4
	s_lshl_b64 s[4:5], s[20:21], 4
	s_add_u32 s4, s18, s4
	s_addc_u32 s5, s19, s5
	v_mov_b32_e32 v1, v2
	s_add_u32 s2, s4, s2
	v_lshlrev_b64 v[0:1], 4, v[0:1]
	s_addc_u32 s3, s5, s3
	v_mov_b32_e32 v2, s3
	v_add_co_u32_e64 v0, s[2:3], s2, v0
	v_addc_co_u32_e64 v1, s[2:3], v2, v1, s[2:3]
	v_add_co_u32_e64 v4, s[2:3], 8, v0
	v_pk_mov_b32 v[2:3], 0, 0
	v_cmp_gt_i32_e64 s[0:1], s35, v14
	v_addc_co_u32_e64 v5, s[2:3], 0, v1, s[2:3]
	s_lshl_b64 s[12:13], s[22:23], 8
	v_add_u32_e32 v17, s41, v15
	s_mov_b64 s[14:15], 0
	s_xor_b64 s[16:17], vcc, -1
	v_mov_b32_e32 v7, 0
	v_pk_mov_b32 v[0:1], v[2:3], v[2:3] op_sel:[0,1]
	s_branch .LBB3_16
.LBB3_14:                               ;   in Loop: Header=BB3_16 Depth=1
	s_or_b64 exec, exec, s[6:7]
	global_load_dwordx4 v[18:21], v[4:5], off offset:-8
	global_load_dwordx2 v[22:23], v[10:11], off
	s_waitcnt vmcnt(1)
	v_mul_f64 v[10:11], v[8:9], v[20:21]
	s_waitcnt vmcnt(0)
	v_mul_f64 v[20:21], v[22:23], v[20:21]
	v_fma_f64 v[10:11], v[22:23], v[18:19], -v[10:11]
	v_fmac_f64_e32 v[20:21], v[8:9], v[18:19]
	v_add_f64 v[0:1], v[0:1], v[10:11]
	v_add_f64 v[2:3], v[2:3], v[20:21]
.LBB3_15:                               ;   in Loop: Header=BB3_16 Depth=1
	s_or_b64 exec, exec, s[18:19]
	v_add_u32_e32 v16, 16, v16
	v_cmp_le_i32_e64 s[2:3], s35, v16
	v_mov_b32_e32 v6, s13
	s_or_b64 s[14:15], s[2:3], s[14:15]
	v_add_co_u32_e64 v4, s[2:3], s12, v4
	v_addc_co_u32_e64 v5, s[2:3], v5, v6, s[2:3]
	s_andn2_b64 exec, exec, s[14:15]
	s_cbranch_execz .LBB3_19
.LBB3_16:                               ; =>This Inner Loop Header: Depth=1
	s_and_saveexec_b64 s[18:19], s[0:1]
	s_cbranch_execz .LBB3_15
; %bb.17:                               ;   in Loop: Header=BB3_16 Depth=1
	v_cmp_le_i32_e64 s[2:3], v14, v16
	s_or_b64 s[4:5], s[2:3], s[16:17]
	v_cmp_ge_i32_e64 s[2:3], v14, v16
	s_or_b64 s[2:3], s[2:3], vcc
	s_and_b64 s[2:3], s[4:5], s[2:3]
	v_cndmask_b32_e64 v9, v14, v16, s[2:3]
	v_sub_u32_e32 v10, s34, v9
	v_add_u32_e32 v11, 1, v9
	v_cndmask_b32_e64 v6, v16, v14, s[2:3]
	v_cndmask_b32_e64 v8, v9, 0, vcc
	v_cndmask_b32_e32 v10, v10, v11, vcc
	v_sub_u32_e32 v8, v6, v8
	v_mul_hi_i32 v6, v10, v9
	v_lshrrev_b32_e32 v6, 31, v6
	v_mad_i64_i32 v[10:11], s[4:5], v10, v9, v[6:7]
	v_lshlrev_b64 v[10:11], 3, v[10:11]
	v_and_b32_e32 v6, -16, v10
	v_ashrrev_i32_e32 v9, 31, v8
	v_mov_b32_e32 v10, s43
	v_add_co_u32_e64 v6, s[6:7], s42, v6
	v_addc_co_u32_e64 v11, s[6:7], v10, v11, s[6:7]
	v_lshlrev_b64 v[8:9], 4, v[8:9]
	v_add_co_u32_e64 v10, s[6:7], v6, v8
	v_cmp_ne_u32_e64 s[4:5], v17, v16
	v_addc_co_u32_e64 v11, s[6:7], v11, v9, s[6:7]
	v_pk_mov_b32 v[8:9], 0, 0
	s_and_saveexec_b64 s[6:7], s[4:5]
	s_cbranch_execz .LBB3_14
; %bb.18:                               ;   in Loop: Header=BB3_16 Depth=1
	global_load_dwordx2 v[8:9], v[10:11], off offset:8
	s_waitcnt vmcnt(0)
	v_xor_b32_e32 v6, 0x80000000, v9
	v_cndmask_b32_e64 v9, v6, v9, s[2:3]
	v_cndmask_b32_e64 v8, v8, v8, s[2:3]
	s_branch .LBB3_14
.LBB3_19:
	s_or_b64 exec, exec, s[14:15]
.LBB3_20:
	s_or_b64 exec, exec, s[36:37]
	s_mov_b32 s0, 0x1ffc0
	v_and_or_b32 v4, v13, s0, v15
	v_cmp_gt_u32_e32 vcc, 64, v13
	v_cmp_gt_i32_e64 s[0:1], s35, v14
	v_lshlrev_b32_e32 v4, 4, v4
	s_and_b64 s[2:3], vcc, s[0:1]
	ds_write_b128 v4, v[0:3]
	s_waitcnt lgkmcnt(0)
	s_barrier
	s_waitcnt lgkmcnt(0)
                                        ; implicit-def: $vgpr2_vgpr3
                                        ; implicit-def: $vgpr8_vgpr9
	s_and_saveexec_b64 s[0:1], s[2:3]
	s_cbranch_execz .LBB3_26
; %bb.21:
	v_lshlrev_b32_e32 v0, 4, v13
	v_lshlrev_b32_e32 v1, 4, v12
	ds_read_b128 v[2:5], v0
	ds_read_b128 v[6:9], v1 offset:1024
	v_or_b32_e32 v10, s41, v12
	v_mov_b32_e32 v11, 0
	s_ashr_i32 s3, s35, 31
	s_mov_b32 s2, s35
	s_waitcnt lgkmcnt(0)
	v_add_f64 v[2:3], v[2:3], v[6:7]
	v_add_f64 v[4:5], v[4:5], v[8:9]
	ds_write_b128 v0, v[2:5]
	ds_read_b128 v[6:9], v1 offset:2048
	v_cmp_gt_i64_e32 vcc, s[2:3], v[10:11]
	s_mov_b64 s[4:5], s[30:31]
	s_waitcnt lgkmcnt(0)
	v_add_f64 v[2:3], v[2:3], v[6:7]
	v_add_f64 v[4:5], v[4:5], v[8:9]
	ds_write_b128 v0, v[2:5]
	ds_read_b128 v[6:9], v1 offset:3072
	s_waitcnt lgkmcnt(0)
	v_add_f64 v[2:3], v[2:3], v[6:7]
	v_add_f64 v[4:5], v[4:5], v[8:9]
	ds_write_b128 v0, v[2:5]
	ds_read_b128 v[6:9], v1 offset:4096
	;; [unrolled: 5-line block ×13, first 2 shown]
                                        ; implicit-def: $vgpr2_vgpr3
	s_waitcnt lgkmcnt(0)
	v_add_f64 v[4:5], v[6:7], v[12:13]
	v_add_f64 v[6:7], v[8:9], v[14:15]
	ds_write_b128 v0, v[4:7]
                                        ; implicit-def: $vgpr8_vgpr9
	s_and_saveexec_b64 s[2:3], vcc
	s_cbranch_execz .LBB3_25
; %bb.22:
	v_mul_f64 v[0:1], s[10:11], v[6:7]
	v_fma_f64 v[0:1], s[8:9], v[4:5], -v[0:1]
	v_mul_f64 v[2:3], s[8:9], v[6:7]
	v_mad_u64_u32 v[8:9], s[8:9], v10, s38, 0
	v_cmp_neq_f64_e64 s[4:5], s[26:27], 0
	v_cmp_neq_f64_e64 s[6:7], s[28:29], 0
	v_fmac_f64_e32 v[2:3], s[10:11], v[4:5]
	v_mov_b32_e32 v4, v9
	v_mad_u64_u32 v[4:5], s[8:9], v10, s39, v[4:5]
	s_or_b64 s[4:5], s[4:5], s[6:7]
	s_andn2_b64 vcc, exec, s[4:5]
	v_mov_b32_e32 v9, v4
	s_cbranch_vccnz .LBB3_24
; %bb.23:
	v_lshlrev_b64 v[4:5], 4, v[8:9]
	v_mov_b32_e32 v6, s40
	v_add_co_u32_e32 v4, vcc, s33, v4
	v_addc_co_u32_e32 v5, vcc, v6, v5, vcc
	global_load_dwordx4 v[4:7], v[4:5], off
	s_waitcnt vmcnt(0)
	v_mul_f64 v[10:11], s[28:29], v[6:7]
	v_mul_f64 v[6:7], s[26:27], v[6:7]
	v_fma_f64 v[10:11], s[26:27], v[4:5], -v[10:11]
	v_fmac_f64_e32 v[6:7], s[28:29], v[4:5]
	v_add_f64 v[0:1], v[0:1], v[10:11]
	v_add_f64 v[2:3], v[2:3], v[6:7]
.LBB3_24:
	s_or_b64 s[4:5], s[30:31], exec
.LBB3_25:
	s_or_b64 exec, exec, s[2:3]
	s_andn2_b64 s[2:3], s[30:31], exec
	s_and_b64 s[4:5], s[4:5], exec
	s_or_b64 s[30:31], s[2:3], s[4:5]
.LBB3_26:
	s_or_b64 exec, exec, s[0:1]
.LBB3_27:
	s_and_saveexec_b64 s[0:1], s[30:31]
	s_cbranch_execz .LBB3_29
; %bb.28:
	v_lshlrev_b64 v[4:5], 4, v[8:9]
	v_mov_b32_e32 v6, s40
	v_add_co_u32_e32 v4, vcc, s33, v4
	v_addc_co_u32_e32 v5, vcc, v6, v5, vcc
	global_store_dwordx4 v[4:5], v[0:3], off
.LBB3_29:
	s_endpgm
	.section	.rodata,"a",@progbits
	.p2align	6, 0x0
	.amdhsa_kernel _ZL19rocblas_hpmv_kernelILi64ELi16E19rocblas_complex_numIdEPKS1_PS1_EvbiT1_T2_llS6_lllS5_T3_llli
		.amdhsa_group_segment_fixed_size 16384
		.amdhsa_private_segment_fixed_size 0
		.amdhsa_kernarg_size 132
		.amdhsa_user_sgpr_count 6
		.amdhsa_user_sgpr_private_segment_buffer 1
		.amdhsa_user_sgpr_dispatch_ptr 0
		.amdhsa_user_sgpr_queue_ptr 0
		.amdhsa_user_sgpr_kernarg_segment_ptr 1
		.amdhsa_user_sgpr_dispatch_id 0
		.amdhsa_user_sgpr_flat_scratch_init 0
		.amdhsa_user_sgpr_kernarg_preload_length 0
		.amdhsa_user_sgpr_kernarg_preload_offset 0
		.amdhsa_user_sgpr_private_segment_size 0
		.amdhsa_uses_dynamic_stack 0
		.amdhsa_system_sgpr_private_segment_wavefront_offset 0
		.amdhsa_system_sgpr_workgroup_id_x 1
		.amdhsa_system_sgpr_workgroup_id_y 0
		.amdhsa_system_sgpr_workgroup_id_z 1
		.amdhsa_system_sgpr_workgroup_info 0
		.amdhsa_system_vgpr_workitem_id 1
		.amdhsa_next_free_vgpr 24
		.amdhsa_next_free_sgpr 44
		.amdhsa_accum_offset 24
		.amdhsa_reserve_vcc 1
		.amdhsa_reserve_flat_scratch 0
		.amdhsa_float_round_mode_32 0
		.amdhsa_float_round_mode_16_64 0
		.amdhsa_float_denorm_mode_32 3
		.amdhsa_float_denorm_mode_16_64 3
		.amdhsa_dx10_clamp 1
		.amdhsa_ieee_mode 1
		.amdhsa_fp16_overflow 0
		.amdhsa_tg_split 0
		.amdhsa_exception_fp_ieee_invalid_op 0
		.amdhsa_exception_fp_denorm_src 0
		.amdhsa_exception_fp_ieee_div_zero 0
		.amdhsa_exception_fp_ieee_overflow 0
		.amdhsa_exception_fp_ieee_underflow 0
		.amdhsa_exception_fp_ieee_inexact 0
		.amdhsa_exception_int_div_zero 0
	.end_amdhsa_kernel
	.section	.text._ZL19rocblas_hpmv_kernelILi64ELi16E19rocblas_complex_numIdEPKS1_PS1_EvbiT1_T2_llS6_lllS5_T3_llli,"axG",@progbits,_ZL19rocblas_hpmv_kernelILi64ELi16E19rocblas_complex_numIdEPKS1_PS1_EvbiT1_T2_llS6_lllS5_T3_llli,comdat
.Lfunc_end3:
	.size	_ZL19rocblas_hpmv_kernelILi64ELi16E19rocblas_complex_numIdEPKS1_PS1_EvbiT1_T2_llS6_lllS5_T3_llli, .Lfunc_end3-_ZL19rocblas_hpmv_kernelILi64ELi16E19rocblas_complex_numIdEPKS1_PS1_EvbiT1_T2_llS6_lllS5_T3_llli
                                        ; -- End function
	.section	.AMDGPU.csdata,"",@progbits
; Kernel info:
; codeLenInByte = 1908
; NumSgprs: 48
; NumVgprs: 24
; NumAgprs: 0
; TotalNumVgprs: 24
; ScratchSize: 0
; MemoryBound: 0
; FloatMode: 240
; IeeeMode: 1
; LDSByteSize: 16384 bytes/workgroup (compile time only)
; SGPRBlocks: 5
; VGPRBlocks: 2
; NumSGPRsForWavesPerEU: 48
; NumVGPRsForWavesPerEU: 24
; AccumOffset: 24
; Occupancy: 8
; WaveLimiterHint : 0
; COMPUTE_PGM_RSRC2:SCRATCH_EN: 0
; COMPUTE_PGM_RSRC2:USER_SGPR: 6
; COMPUTE_PGM_RSRC2:TRAP_HANDLER: 0
; COMPUTE_PGM_RSRC2:TGID_X_EN: 1
; COMPUTE_PGM_RSRC2:TGID_Y_EN: 0
; COMPUTE_PGM_RSRC2:TGID_Z_EN: 1
; COMPUTE_PGM_RSRC2:TIDIG_COMP_CNT: 1
; COMPUTE_PGM_RSRC3_GFX90A:ACCUM_OFFSET: 5
; COMPUTE_PGM_RSRC3_GFX90A:TG_SPLIT: 0
	.section	.text._ZL19rocblas_hpmv_kernelILi64ELi16EPK19rocblas_complex_numIfEPKS3_PKPS1_EvbiT1_T2_llSA_lllS9_T3_llli,"axG",@progbits,_ZL19rocblas_hpmv_kernelILi64ELi16EPK19rocblas_complex_numIfEPKS3_PKPS1_EvbiT1_T2_llSA_lllS9_T3_llli,comdat
	.globl	_ZL19rocblas_hpmv_kernelILi64ELi16EPK19rocblas_complex_numIfEPKS3_PKPS1_EvbiT1_T2_llSA_lllS9_T3_llli ; -- Begin function _ZL19rocblas_hpmv_kernelILi64ELi16EPK19rocblas_complex_numIfEPKS3_PKPS1_EvbiT1_T2_llSA_lllS9_T3_llli
	.p2align	8
	.type	_ZL19rocblas_hpmv_kernelILi64ELi16EPK19rocblas_complex_numIfEPKS3_PKPS1_EvbiT1_T2_llSA_lllS9_T3_llli,@function
_ZL19rocblas_hpmv_kernelILi64ELi16EPK19rocblas_complex_numIfEPKS3_PKPS1_EvbiT1_T2_llSA_lllS9_T3_llli: ; @_ZL19rocblas_hpmv_kernelILi64ELi16EPK19rocblas_complex_numIfEPKS3_PKPS1_EvbiT1_T2_llSA_lllS9_T3_llli
; %bb.0:
	s_load_dwordx4 s[0:3], s[4:5], 0x8
	s_load_dwordx8 s[8:15], s[4:5], 0x48
	s_waitcnt lgkmcnt(0)
	s_load_dwordx2 s[18:19], s[0:1], 0x0
	s_load_dwordx2 s[16:17], s[8:9], 0x0
	s_waitcnt lgkmcnt(0)
	v_cmp_eq_f32_e64 s[0:1], s18, 0
	v_cmp_eq_f32_e64 s[8:9], s19, 0
	v_cmp_eq_f32_e64 s[20:21], s16, 1.0
	v_cmp_eq_f32_e64 s[22:23], s17, 0
	s_and_b64 s[0:1], s[0:1], s[8:9]
	s_and_b64 s[8:9], s[20:21], s[22:23]
	;; [unrolled: 1-line block ×3, first 2 shown]
	s_and_b64 vcc, exec, s[0:1]
	s_cbranch_vccnz .LBB4_28
; %bb.1:
	s_or_b32 s0, s18, s19
	s_bitset0_b32 s0, 31
	s_cmp_lg_u32 s0, 0
	s_cselect_b64 s[8:9], -1, 0
	s_cmp_eq_u32 s0, 0
	s_mov_b32 s26, s7
	s_cselect_b64 s[28:29], -1, 0
	s_and_b64 vcc, exec, s[8:9]
	s_cbranch_vccnz .LBB4_3
; %bb.2:
	s_mov_b32 s27, 0
	s_mov_b64 s[20:21], 0
	s_cbranch_execz .LBB4_4
	s_branch .LBB4_5
.LBB4_3:
                                        ; implicit-def: $sgpr20_sgpr21
.LBB4_4:
	s_mov_b32 s27, 0
	s_lshl_b64 s[20:21], s[26:27], 3
	s_add_u32 s2, s2, s20
	s_load_dwordx2 s[0:1], s[4:5], 0x18
	s_addc_u32 s3, s3, s21
	s_load_dwordx2 s[2:3], s[2:3], 0x0
	s_waitcnt lgkmcnt(0)
	s_lshl_b64 s[0:1], s[0:1], 3
	s_add_u32 s20, s2, s0
	s_addc_u32 s21, s3, s1
.LBB4_5:
	s_load_dwordx4 s[0:3], s[4:5], 0x28
	s_load_dwordx2 s[22:23], s[4:5], 0x38
	s_andn2_b64 vcc, exec, s[8:9]
	s_mov_b64 s[24:25], 0
	s_cbranch_vccnz .LBB4_7
; %bb.6:
	s_lshl_b64 s[8:9], s[26:27], 3
	s_waitcnt lgkmcnt(0)
	s_add_u32 s0, s0, s8
	s_addc_u32 s1, s1, s9
	s_load_dwordx2 s[0:1], s[0:1], 0x0
	s_lshl_b64 s[2:3], s[2:3], 3
	s_waitcnt lgkmcnt(0)
	s_add_u32 s24, s0, s2
	s_addc_u32 s25, s1, s3
.LBB4_7:
	s_waitcnt lgkmcnt(0)
	s_lshl_b64 s[0:1], s[26:27], 3
	s_add_u32 s0, s10, s0
	s_addc_u32 s1, s11, s1
	s_load_dwordx2 s[2:3], s[0:1], 0x0
	s_load_dwordx2 s[8:9], s[4:5], 0x0
	s_lshl_b64 s[0:1], s[12:13], 3
	v_and_b32_e32 v8, 0x3ff, v0
	v_bfe_u32 v0, v0, 10, 10
	s_waitcnt lgkmcnt(0)
	s_add_u32 s30, s2, s0
	s_addc_u32 s31, s3, s1
	v_and_b32_e32 v11, 63, v8
	s_lshl_b32 s33, s6, 6
	v_lshl_add_u32 v9, v0, 6, v8
	v_or_b32_e32 v10, s33, v11
	s_mov_b64 s[4:5], -1
	s_andn2_b64 vcc, exec, s[28:29]
	v_cmp_gt_i32_e64 s[0:1], s9, v10
	v_cmp_gt_u32_e64 s[2:3], 64, v9
	s_cbranch_vccnz .LBB4_14
; %bb.8:
	s_and_b64 s[2:3], s[2:3], s[0:1]
	s_and_saveexec_b64 s[0:1], s[2:3]
	s_cbranch_execz .LBB4_13
; %bb.9:
	v_or_b32_e32 v0, s33, v8
	v_cmp_gt_i32_e32 vcc, s9, v0
	s_and_b64 exec, exec, vcc
	s_cbranch_execz .LBB4_13
; %bb.10:
	v_ashrrev_i32_e32 v1, 31, v0
	v_cmp_neq_f32_e64 s[2:3], s16, 0
	v_cmp_neq_f32_e64 s[4:5], s17, 0
	v_mul_lo_u32 v2, v0, s15
	v_mul_lo_u32 v3, v1, s14
	v_mad_u64_u32 v[0:1], s[6:7], v0, s14, 0
	v_add3_u32 v1, v1, v2, v3
	s_or_b64 s[2:3], s[2:3], s[4:5]
	s_andn2_b64 vcc, exec, s[2:3]
	v_mov_b32_e32 v2, 0
	v_lshlrev_b64 v[0:1], 3, v[0:1]
	v_mov_b32_e32 v3, 0
	s_cbranch_vccnz .LBB4_12
; %bb.11:
	v_mov_b32_e32 v3, s31
	v_add_co_u32_e32 v2, vcc, s30, v0
	v_addc_co_u32_e32 v3, vcc, v3, v1, vcc
	global_load_dwordx2 v[4:5], v[2:3], off
	s_waitcnt vmcnt(0)
	v_pk_mul_f32 v[6:7], s[16:17], v[4:5] op_sel:[0,1]
	v_pk_fma_f32 v[2:3], s[16:17], v[4:5], v[6:7] op_sel:[0,0,1] op_sel_hi:[1,1,0] neg_lo:[0,0,1] neg_hi:[0,0,1]
	v_pk_fma_f32 v[4:5], s[16:17], v[4:5], v[6:7] op_sel:[0,0,1] op_sel_hi:[1,0,0]
	v_mov_b32_e32 v3, v5
.LBB4_12:
	v_mov_b32_e32 v4, s31
	v_add_co_u32_e32 v0, vcc, s30, v0
	v_addc_co_u32_e32 v1, vcc, v4, v1, vcc
	global_store_dwordx2 v[0:1], v[2:3], off
.LBB4_13:
	s_or_b64 exec, exec, s[0:1]
	s_mov_b64 s[4:5], 0
.LBB4_14:
	s_andn2_b64 vcc, exec, s[4:5]
	s_cbranch_vccnz .LBB4_28
; %bb.15:
	v_lshrrev_b32_e32 v12, 6, v9
	v_mov_b32_e32 v1, 0
	v_cmp_gt_i32_e32 vcc, s9, v12
	v_mov_b32_e32 v0, v1
	s_and_saveexec_b64 s[10:11], vcc
	s_cbranch_execz .LBB4_23
; %bb.16:
	s_bitcmp1_b32 s8, 0
	s_cselect_b64 vcc, -1, 0
	s_lshl_b32 s2, s9, 1
	v_lshrrev_b32_e32 v3, 6, v9
	s_or_b32 s8, s2, 1
	v_mad_u64_u32 v[0:1], s[2:3], s22, v3, 0
	v_mov_b32_e32 v2, v1
	v_mad_u64_u32 v[2:3], s[2:3], s23, v3, v[2:3]
	v_mov_b32_e32 v1, v2
	v_lshlrev_b64 v[0:1], 3, v[0:1]
	v_mov_b32_e32 v3, s25
	v_add_co_u32_e64 v2, s[2:3], s24, v0
	s_lshl_b64 s[12:13], s[22:23], 7
	v_mov_b32_e32 v5, 0
	v_cmp_gt_i32_e64 s[0:1], s9, v10
	v_addc_co_u32_e64 v3, s[2:3], v3, v1, s[2:3]
	v_add_u32_e32 v13, s33, v11
	s_mov_b64 s[22:23], 0
	s_xor_b64 s[24:25], vcc, -1
	v_mov_b32_e32 v14, s13
	v_mov_b32_e32 v0, v5
	;; [unrolled: 1-line block ×3, first 2 shown]
	s_branch .LBB4_19
.LBB4_17:                               ;   in Loop: Header=BB4_19 Depth=1
	s_or_b64 exec, exec, s[6:7]
	flat_load_dwordx2 v[16:17], v[2:3]
	flat_load_dword v18, v[6:7]
	s_waitcnt vmcnt(0) lgkmcnt(0)
	v_pk_mul_f32 v[6:7], v[4:5], v[16:17] op_sel_hi:[0,1]
	v_pk_fma_f32 v[20:21], v[18:19], v[16:17], v[6:7] op_sel:[0,0,1] op_sel_hi:[1,1,0] neg_lo:[0,0,1] neg_hi:[0,0,1]
	v_pk_fma_f32 v[6:7], v[18:19], v[16:17], v[6:7] op_sel:[0,0,1] op_sel_hi:[0,1,0]
	v_mov_b32_e32 v21, v7
	v_pk_add_f32 v[0:1], v[0:1], v[20:21]
.LBB4_18:                               ;   in Loop: Header=BB4_19 Depth=1
	s_or_b64 exec, exec, s[26:27]
	v_add_u32_e32 v12, 16, v12
	v_cmp_le_i32_e64 s[2:3], s9, v12
	s_or_b64 s[22:23], s[2:3], s[22:23]
	v_add_co_u32_e64 v2, s[2:3], s12, v2
	v_addc_co_u32_e64 v3, s[2:3], v3, v14, s[2:3]
	s_andn2_b64 exec, exec, s[22:23]
	s_cbranch_execz .LBB4_22
.LBB4_19:                               ; =>This Inner Loop Header: Depth=1
	s_and_saveexec_b64 s[26:27], s[0:1]
	s_cbranch_execz .LBB4_18
; %bb.20:                               ;   in Loop: Header=BB4_19 Depth=1
	v_cmp_le_i32_e64 s[2:3], v10, v12
	s_or_b64 s[4:5], s[2:3], s[24:25]
	v_cmp_ge_i32_e64 s[2:3], v10, v12
	s_or_b64 s[2:3], s[2:3], vcc
	s_and_b64 s[2:3], s[4:5], s[2:3]
	v_cndmask_b32_e64 v7, v10, v12, s[2:3]
	v_sub_u32_e32 v15, s8, v7
	v_add_u32_e32 v16, 1, v7
	v_cndmask_b32_e64 v4, v12, v10, s[2:3]
	v_cndmask_b32_e64 v6, v7, 0, vcc
	v_cndmask_b32_e32 v15, v15, v16, vcc
	v_sub_u32_e32 v6, v4, v6
	v_mul_hi_i32 v4, v15, v7
	v_lshrrev_b32_e32 v4, 31, v4
	v_mad_i64_i32 v[16:17], s[4:5], v15, v7, v[4:5]
	v_lshlrev_b64 v[16:17], 2, v[16:17]
	v_and_b32_e32 v4, -8, v16
	v_ashrrev_i32_e32 v7, 31, v6
	v_mov_b32_e32 v15, s21
	v_add_co_u32_e64 v4, s[6:7], s20, v4
	v_addc_co_u32_e64 v15, s[6:7], v15, v17, s[6:7]
	v_lshlrev_b64 v[6:7], 3, v[6:7]
	v_add_co_u32_e64 v6, s[6:7], v4, v6
	v_cmp_ne_u32_e64 s[4:5], v13, v12
	v_addc_co_u32_e64 v7, s[6:7], v15, v7, s[6:7]
	v_mov_b32_e32 v4, 0
	s_and_saveexec_b64 s[6:7], s[4:5]
	s_cbranch_execz .LBB4_17
; %bb.21:                               ;   in Loop: Header=BB4_19 Depth=1
	flat_load_dword v4, v[6:7] offset:4
	s_waitcnt vmcnt(0) lgkmcnt(0)
	v_cndmask_b32_e64 v4, -v4, v4, s[2:3]
	s_branch .LBB4_17
.LBB4_22:
	s_or_b64 exec, exec, s[22:23]
.LBB4_23:
	s_or_b64 exec, exec, s[10:11]
	s_mov_b32 s0, 0x1ffc0
	v_and_or_b32 v2, v9, s0, v11
	v_cmp_gt_u32_e32 vcc, 64, v9
	v_cmp_gt_i32_e64 s[0:1], s9, v10
	v_lshlrev_b32_e32 v2, 3, v2
	s_and_b64 s[0:1], vcc, s[0:1]
	ds_write_b64 v2, v[0:1]
	s_waitcnt lgkmcnt(0)
	s_barrier
	s_and_saveexec_b64 s[2:3], s[0:1]
	s_cbranch_execz .LBB4_28
; %bb.24:
	v_lshlrev_b32_e32 v6, 3, v9
	v_lshlrev_b32_e32 v4, 3, v8
	ds_read_b64 v[0:1], v6
	ds_read_b64 v[2:3], v4 offset:512
	v_mov_b32_e32 v5, 0
	s_ashr_i32 s1, s9, 31
	s_mov_b32 s0, s9
	s_waitcnt lgkmcnt(0)
	v_pk_add_f32 v[0:1], v[0:1], v[2:3]
	ds_write_b64 v6, v[0:1]
	ds_read_b64 v[2:3], v4 offset:1024
	s_waitcnt lgkmcnt(0)
	v_pk_add_f32 v[0:1], v[0:1], v[2:3]
	ds_write_b64 v6, v[0:1]
	ds_read_b64 v[2:3], v4 offset:1536
	;; [unrolled: 4-line block ×14, first 2 shown]
	v_or_b32_e32 v4, s33, v8
	v_cmp_gt_i64_e32 vcc, s[0:1], v[4:5]
	s_waitcnt lgkmcnt(0)
	v_pk_add_f32 v[2:3], v[0:1], v[2:3]
	ds_write_b64 v6, v[2:3]
	s_and_b64 exec, exec, vcc
	s_cbranch_execz .LBB4_28
; %bb.25:
	v_pk_mul_f32 v[6:7], v[2:3], s[18:19] op_sel:[1,0]
	v_pk_fma_f32 v[0:1], v[2:3], s[18:19], v[6:7] op_sel:[0,0,1] op_sel_hi:[0,1,0] neg_lo:[0,0,1] neg_hi:[0,0,1]
	v_pk_fma_f32 v[2:3], v[2:3], s[18:19], v[6:7] op_sel:[0,0,1] op_sel_hi:[0,1,0]
	v_mad_u64_u32 v[6:7], s[4:5], v4, s14, 0
	v_mov_b32_e32 v2, v7
	v_cmp_neq_f32_e64 s[0:1], s16, 0
	v_cmp_neq_f32_e64 s[2:3], s17, 0
	v_mad_u64_u32 v[4:5], s[4:5], v4, s15, v[2:3]
	v_mov_b32_e32 v7, v4
	s_or_b64 s[0:1], s[0:1], s[2:3]
	s_andn2_b64 vcc, exec, s[0:1]
	v_lshlrev_b64 v[4:5], 3, v[6:7]
	s_cbranch_vccnz .LBB4_27
; %bb.26:
	v_mov_b32_e32 v1, s31
	v_add_co_u32_e32 v6, vcc, s30, v4
	v_addc_co_u32_e32 v7, vcc, v1, v5, vcc
	global_load_dwordx2 v[6:7], v[6:7], off
	v_mov_b32_e32 v1, v3
	s_waitcnt vmcnt(0)
	v_pk_mul_f32 v[2:3], s[16:17], v[6:7] op_sel:[0,1]
	v_pk_fma_f32 v[8:9], s[16:17], v[6:7], v[2:3] op_sel:[0,0,1] op_sel_hi:[1,1,0] neg_lo:[0,0,1] neg_hi:[0,0,1]
	v_pk_fma_f32 v[2:3], s[16:17], v[6:7], v[2:3] op_sel:[0,0,1] op_sel_hi:[1,0,0]
	v_mov_b32_e32 v9, v3
	v_pk_add_f32 v[0:1], v[0:1], v[8:9]
	v_mov_b32_e32 v3, v1
.LBB4_27:
	v_mov_b32_e32 v1, s31
	v_add_co_u32_e32 v4, vcc, s30, v4
	v_addc_co_u32_e32 v5, vcc, v1, v5, vcc
	v_mov_b32_e32 v1, v3
	global_store_dwordx2 v[4:5], v[0:1], off
.LBB4_28:
	s_endpgm
	.section	.rodata,"a",@progbits
	.p2align	6, 0x0
	.amdhsa_kernel _ZL19rocblas_hpmv_kernelILi64ELi16EPK19rocblas_complex_numIfEPKS3_PKPS1_EvbiT1_T2_llSA_lllS9_T3_llli
		.amdhsa_group_segment_fixed_size 8192
		.amdhsa_private_segment_fixed_size 0
		.amdhsa_kernarg_size 116
		.amdhsa_user_sgpr_count 6
		.amdhsa_user_sgpr_private_segment_buffer 1
		.amdhsa_user_sgpr_dispatch_ptr 0
		.amdhsa_user_sgpr_queue_ptr 0
		.amdhsa_user_sgpr_kernarg_segment_ptr 1
		.amdhsa_user_sgpr_dispatch_id 0
		.amdhsa_user_sgpr_flat_scratch_init 0
		.amdhsa_user_sgpr_kernarg_preload_length 0
		.amdhsa_user_sgpr_kernarg_preload_offset 0
		.amdhsa_user_sgpr_private_segment_size 0
		.amdhsa_uses_dynamic_stack 0
		.amdhsa_system_sgpr_private_segment_wavefront_offset 0
		.amdhsa_system_sgpr_workgroup_id_x 1
		.amdhsa_system_sgpr_workgroup_id_y 0
		.amdhsa_system_sgpr_workgroup_id_z 1
		.amdhsa_system_sgpr_workgroup_info 0
		.amdhsa_system_vgpr_workitem_id 1
		.amdhsa_next_free_vgpr 22
		.amdhsa_next_free_sgpr 34
		.amdhsa_accum_offset 24
		.amdhsa_reserve_vcc 1
		.amdhsa_reserve_flat_scratch 0
		.amdhsa_float_round_mode_32 0
		.amdhsa_float_round_mode_16_64 0
		.amdhsa_float_denorm_mode_32 3
		.amdhsa_float_denorm_mode_16_64 3
		.amdhsa_dx10_clamp 1
		.amdhsa_ieee_mode 1
		.amdhsa_fp16_overflow 0
		.amdhsa_tg_split 0
		.amdhsa_exception_fp_ieee_invalid_op 0
		.amdhsa_exception_fp_denorm_src 0
		.amdhsa_exception_fp_ieee_div_zero 0
		.amdhsa_exception_fp_ieee_overflow 0
		.amdhsa_exception_fp_ieee_underflow 0
		.amdhsa_exception_fp_ieee_inexact 0
		.amdhsa_exception_int_div_zero 0
	.end_amdhsa_kernel
	.section	.text._ZL19rocblas_hpmv_kernelILi64ELi16EPK19rocblas_complex_numIfEPKS3_PKPS1_EvbiT1_T2_llSA_lllS9_T3_llli,"axG",@progbits,_ZL19rocblas_hpmv_kernelILi64ELi16EPK19rocblas_complex_numIfEPKS3_PKPS1_EvbiT1_T2_llSA_lllS9_T3_llli,comdat
.Lfunc_end4:
	.size	_ZL19rocblas_hpmv_kernelILi64ELi16EPK19rocblas_complex_numIfEPKS3_PKPS1_EvbiT1_T2_llSA_lllS9_T3_llli, .Lfunc_end4-_ZL19rocblas_hpmv_kernelILi64ELi16EPK19rocblas_complex_numIfEPKS3_PKPS1_EvbiT1_T2_llSA_lllS9_T3_llli
                                        ; -- End function
	.section	.AMDGPU.csdata,"",@progbits
; Kernel info:
; codeLenInByte = 1724
; NumSgprs: 38
; NumVgprs: 22
; NumAgprs: 0
; TotalNumVgprs: 22
; ScratchSize: 0
; MemoryBound: 0
; FloatMode: 240
; IeeeMode: 1
; LDSByteSize: 8192 bytes/workgroup (compile time only)
; SGPRBlocks: 4
; VGPRBlocks: 2
; NumSGPRsForWavesPerEU: 38
; NumVGPRsForWavesPerEU: 22
; AccumOffset: 24
; Occupancy: 8
; WaveLimiterHint : 1
; COMPUTE_PGM_RSRC2:SCRATCH_EN: 0
; COMPUTE_PGM_RSRC2:USER_SGPR: 6
; COMPUTE_PGM_RSRC2:TRAP_HANDLER: 0
; COMPUTE_PGM_RSRC2:TGID_X_EN: 1
; COMPUTE_PGM_RSRC2:TGID_Y_EN: 0
; COMPUTE_PGM_RSRC2:TGID_Z_EN: 1
; COMPUTE_PGM_RSRC2:TIDIG_COMP_CNT: 1
; COMPUTE_PGM_RSRC3_GFX90A:ACCUM_OFFSET: 5
; COMPUTE_PGM_RSRC3_GFX90A:TG_SPLIT: 0
	.section	.text._ZL19rocblas_hpmv_kernelILi64ELi16E19rocblas_complex_numIfEPKPKS1_PKPS1_EvbiT1_T2_llSA_lllS9_T3_llli,"axG",@progbits,_ZL19rocblas_hpmv_kernelILi64ELi16E19rocblas_complex_numIfEPKPKS1_PKPS1_EvbiT1_T2_llSA_lllS9_T3_llli,comdat
	.globl	_ZL19rocblas_hpmv_kernelILi64ELi16E19rocblas_complex_numIfEPKPKS1_PKPS1_EvbiT1_T2_llSA_lllS9_T3_llli ; -- Begin function _ZL19rocblas_hpmv_kernelILi64ELi16E19rocblas_complex_numIfEPKPKS1_PKPS1_EvbiT1_T2_llSA_lllS9_T3_llli
	.p2align	8
	.type	_ZL19rocblas_hpmv_kernelILi64ELi16E19rocblas_complex_numIfEPKPKS1_PKPS1_EvbiT1_T2_llSA_lllS9_T3_llli,@function
_ZL19rocblas_hpmv_kernelILi64ELi16E19rocblas_complex_numIfEPKPKS1_PKPS1_EvbiT1_T2_llSA_lllS9_T3_llli: ; @_ZL19rocblas_hpmv_kernelILi64ELi16E19rocblas_complex_numIfEPKPKS1_PKPS1_EvbiT1_T2_llSA_lllS9_T3_llli
; %bb.0:
	s_load_dwordx4 s[8:11], s[4:5], 0x0
	s_load_dwordx2 s[12:13], s[4:5], 0x48
	s_waitcnt lgkmcnt(0)
	v_cmp_eq_f32_e64 s[0:1], s10, 0
	v_cmp_eq_f32_e64 s[2:3], s11, 0
	s_and_b64 s[0:1], s[0:1], s[2:3]
	v_cmp_eq_f32_e64 s[2:3], s12, 1.0
	v_cmp_eq_f32_e64 s[14:15], s13, 0
	s_and_b64 s[2:3], s[2:3], s[14:15]
	s_and_b64 s[0:1], s[0:1], s[2:3]
	s_and_b64 vcc, exec, s[0:1]
	s_cbranch_vccnz .LBB5_28
; %bb.1:
	s_or_b32 s0, s10, s11
	s_bitset0_b32 s0, 31
	s_cmp_lg_u32 s0, 0
	s_cselect_b64 s[14:15], -1, 0
	s_cmp_eq_u32 s0, 0
	s_mov_b32 s22, s7
	s_cselect_b64 s[24:25], -1, 0
	s_and_b64 vcc, exec, s[14:15]
	s_cbranch_vccnz .LBB5_3
; %bb.2:
	s_mov_b32 s23, 0
	s_mov_b64 s[16:17], 0
	s_cbranch_execz .LBB5_4
	s_branch .LBB5_5
.LBB5_3:
                                        ; implicit-def: $sgpr16_sgpr17
.LBB5_4:
	s_load_dwordx4 s[0:3], s[4:5], 0x10
	s_mov_b32 s23, 0
	s_lshl_b64 s[16:17], s[22:23], 3
	s_waitcnt lgkmcnt(0)
	s_add_u32 s0, s0, s16
	s_addc_u32 s1, s1, s17
	s_load_dwordx2 s[0:1], s[0:1], 0x0
	s_lshl_b64 s[2:3], s[2:3], 3
	s_waitcnt lgkmcnt(0)
	s_add_u32 s16, s0, s2
	s_addc_u32 s17, s1, s3
.LBB5_5:
	s_load_dwordx4 s[0:3], s[4:5], 0x28
	s_load_dwordx2 s[18:19], s[4:5], 0x38
	s_andn2_b64 vcc, exec, s[14:15]
	s_mov_b64 s[20:21], 0
	s_cbranch_vccnz .LBB5_7
; %bb.6:
	s_lshl_b64 s[14:15], s[22:23], 3
	s_waitcnt lgkmcnt(0)
	s_add_u32 s0, s0, s14
	s_addc_u32 s1, s1, s15
	s_load_dwordx2 s[0:1], s[0:1], 0x0
	s_lshl_b64 s[2:3], s[2:3], 3
	s_waitcnt lgkmcnt(0)
	s_add_u32 s20, s0, s2
	s_addc_u32 s21, s1, s3
.LBB5_7:
	s_waitcnt lgkmcnt(0)
	s_load_dwordx4 s[0:3], s[4:5], 0x50
	s_load_dwordx2 s[14:15], s[4:5], 0x60
	s_lshl_b64 s[4:5], s[22:23], 3
	v_and_b32_e32 v8, 0x3ff, v0
	v_bfe_u32 v0, v0, 10, 10
	s_waitcnt lgkmcnt(0)
	s_add_u32 s0, s0, s4
	s_addc_u32 s1, s1, s5
	s_load_dwordx2 s[0:1], s[0:1], 0x0
	s_lshl_b64 s[2:3], s[2:3], 3
	v_and_b32_e32 v11, 63, v8
	v_lshl_add_u32 v9, v0, 6, v8
	s_mov_b64 s[4:5], -1
	s_waitcnt lgkmcnt(0)
	s_add_u32 s28, s0, s2
	s_addc_u32 s29, s1, s3
	s_lshl_b32 s30, s6, 6
	v_or_b32_e32 v10, s30, v11
	s_andn2_b64 vcc, exec, s[24:25]
	v_cmp_gt_i32_e64 s[0:1], s9, v10
	v_cmp_gt_u32_e64 s[2:3], 64, v9
	s_cbranch_vccnz .LBB5_14
; %bb.8:
	s_and_b64 s[2:3], s[2:3], s[0:1]
	s_and_saveexec_b64 s[0:1], s[2:3]
	s_cbranch_execz .LBB5_13
; %bb.9:
	v_or_b32_e32 v0, s30, v8
	v_cmp_gt_i32_e32 vcc, s9, v0
	s_and_b64 exec, exec, vcc
	s_cbranch_execz .LBB5_13
; %bb.10:
	v_ashrrev_i32_e32 v1, 31, v0
	v_cmp_neq_f32_e64 s[2:3], s12, 0
	v_cmp_neq_f32_e64 s[4:5], s13, 0
	v_mul_lo_u32 v2, v0, s15
	v_mul_lo_u32 v3, v1, s14
	v_mad_u64_u32 v[0:1], s[6:7], v0, s14, 0
	v_add3_u32 v1, v1, v2, v3
	s_or_b64 s[2:3], s[2:3], s[4:5]
	s_andn2_b64 vcc, exec, s[2:3]
	v_mov_b32_e32 v2, 0
	v_lshlrev_b64 v[0:1], 3, v[0:1]
	v_mov_b32_e32 v3, 0
	s_cbranch_vccnz .LBB5_12
; %bb.11:
	v_mov_b32_e32 v3, s29
	v_add_co_u32_e32 v2, vcc, s28, v0
	v_addc_co_u32_e32 v3, vcc, v3, v1, vcc
	global_load_dwordx2 v[4:5], v[2:3], off
	s_waitcnt vmcnt(0)
	v_pk_mul_f32 v[6:7], s[12:13], v[4:5] op_sel:[0,1]
	v_pk_fma_f32 v[2:3], s[12:13], v[4:5], v[6:7] op_sel:[0,0,1] op_sel_hi:[1,1,0] neg_lo:[0,0,1] neg_hi:[0,0,1]
	v_pk_fma_f32 v[4:5], s[12:13], v[4:5], v[6:7] op_sel:[0,0,1] op_sel_hi:[1,0,0]
	v_mov_b32_e32 v3, v5
.LBB5_12:
	v_mov_b32_e32 v4, s29
	v_add_co_u32_e32 v0, vcc, s28, v0
	v_addc_co_u32_e32 v1, vcc, v4, v1, vcc
	global_store_dwordx2 v[0:1], v[2:3], off
.LBB5_13:
	s_or_b64 exec, exec, s[0:1]
	s_mov_b64 s[4:5], 0
.LBB5_14:
	s_andn2_b64 vcc, exec, s[4:5]
	s_cbranch_vccnz .LBB5_28
; %bb.15:
	v_lshrrev_b32_e32 v12, 6, v9
	v_mov_b32_e32 v1, 0
	v_cmp_gt_i32_e32 vcc, s9, v12
	v_mov_b32_e32 v0, v1
	s_and_saveexec_b64 s[22:23], vcc
	s_cbranch_execz .LBB5_23
; %bb.16:
	s_bitcmp1_b32 s8, 0
	s_cselect_b64 vcc, -1, 0
	s_lshl_b32 s2, s9, 1
	v_lshrrev_b32_e32 v3, 6, v9
	s_or_b32 s8, s2, 1
	v_mad_u64_u32 v[0:1], s[2:3], s18, v3, 0
	v_mov_b32_e32 v2, v1
	v_mad_u64_u32 v[2:3], s[2:3], s19, v3, v[2:3]
	v_mov_b32_e32 v1, v2
	v_lshlrev_b64 v[0:1], 3, v[0:1]
	v_mov_b32_e32 v3, s21
	v_add_co_u32_e64 v2, s[2:3], s20, v0
	s_lshl_b64 s[18:19], s[18:19], 7
	v_mov_b32_e32 v5, 0
	v_cmp_gt_i32_e64 s[0:1], s9, v10
	v_addc_co_u32_e64 v3, s[2:3], v3, v1, s[2:3]
	v_add_u32_e32 v13, s30, v11
	s_mov_b64 s[20:21], 0
	s_xor_b64 s[24:25], vcc, -1
	v_mov_b32_e32 v14, s19
	v_mov_b32_e32 v0, v5
	v_mov_b32_e32 v1, v5
	s_branch .LBB5_19
.LBB5_17:                               ;   in Loop: Header=BB5_19 Depth=1
	s_or_b64 exec, exec, s[6:7]
	flat_load_dwordx2 v[16:17], v[2:3]
	flat_load_dword v18, v[6:7]
	s_waitcnt vmcnt(0) lgkmcnt(0)
	v_pk_mul_f32 v[6:7], v[4:5], v[16:17] op_sel_hi:[0,1]
	v_pk_fma_f32 v[20:21], v[18:19], v[16:17], v[6:7] op_sel:[0,0,1] op_sel_hi:[1,1,0] neg_lo:[0,0,1] neg_hi:[0,0,1]
	v_pk_fma_f32 v[6:7], v[18:19], v[16:17], v[6:7] op_sel:[0,0,1] op_sel_hi:[0,1,0]
	v_mov_b32_e32 v21, v7
	v_pk_add_f32 v[0:1], v[0:1], v[20:21]
.LBB5_18:                               ;   in Loop: Header=BB5_19 Depth=1
	s_or_b64 exec, exec, s[26:27]
	v_add_u32_e32 v12, 16, v12
	v_cmp_le_i32_e64 s[2:3], s9, v12
	s_or_b64 s[20:21], s[2:3], s[20:21]
	v_add_co_u32_e64 v2, s[2:3], s18, v2
	v_addc_co_u32_e64 v3, s[2:3], v3, v14, s[2:3]
	s_andn2_b64 exec, exec, s[20:21]
	s_cbranch_execz .LBB5_22
.LBB5_19:                               ; =>This Inner Loop Header: Depth=1
	s_and_saveexec_b64 s[26:27], s[0:1]
	s_cbranch_execz .LBB5_18
; %bb.20:                               ;   in Loop: Header=BB5_19 Depth=1
	v_cmp_le_i32_e64 s[2:3], v10, v12
	s_or_b64 s[4:5], s[2:3], s[24:25]
	v_cmp_ge_i32_e64 s[2:3], v10, v12
	s_or_b64 s[2:3], s[2:3], vcc
	s_and_b64 s[2:3], s[4:5], s[2:3]
	v_cndmask_b32_e64 v7, v10, v12, s[2:3]
	v_sub_u32_e32 v15, s8, v7
	v_add_u32_e32 v16, 1, v7
	v_cndmask_b32_e64 v4, v12, v10, s[2:3]
	v_cndmask_b32_e64 v6, v7, 0, vcc
	v_cndmask_b32_e32 v15, v15, v16, vcc
	v_sub_u32_e32 v6, v4, v6
	v_mul_hi_i32 v4, v15, v7
	v_lshrrev_b32_e32 v4, 31, v4
	v_mad_i64_i32 v[16:17], s[4:5], v15, v7, v[4:5]
	v_lshlrev_b64 v[16:17], 2, v[16:17]
	v_and_b32_e32 v4, -8, v16
	v_ashrrev_i32_e32 v7, 31, v6
	v_mov_b32_e32 v15, s17
	v_add_co_u32_e64 v4, s[6:7], s16, v4
	v_addc_co_u32_e64 v15, s[6:7], v15, v17, s[6:7]
	v_lshlrev_b64 v[6:7], 3, v[6:7]
	v_add_co_u32_e64 v6, s[6:7], v4, v6
	v_cmp_ne_u32_e64 s[4:5], v13, v12
	v_addc_co_u32_e64 v7, s[6:7], v15, v7, s[6:7]
	v_mov_b32_e32 v4, 0
	s_and_saveexec_b64 s[6:7], s[4:5]
	s_cbranch_execz .LBB5_17
; %bb.21:                               ;   in Loop: Header=BB5_19 Depth=1
	flat_load_dword v4, v[6:7] offset:4
	s_waitcnt vmcnt(0) lgkmcnt(0)
	v_cndmask_b32_e64 v4, -v4, v4, s[2:3]
	s_branch .LBB5_17
.LBB5_22:
	s_or_b64 exec, exec, s[20:21]
.LBB5_23:
	s_or_b64 exec, exec, s[22:23]
	s_mov_b32 s0, 0x1ffc0
	v_and_or_b32 v2, v9, s0, v11
	v_cmp_gt_u32_e32 vcc, 64, v9
	v_cmp_gt_i32_e64 s[0:1], s9, v10
	v_lshlrev_b32_e32 v2, 3, v2
	s_and_b64 s[0:1], vcc, s[0:1]
	ds_write_b64 v2, v[0:1]
	s_waitcnt lgkmcnt(0)
	s_barrier
	s_and_saveexec_b64 s[2:3], s[0:1]
	s_cbranch_execz .LBB5_28
; %bb.24:
	v_lshlrev_b32_e32 v6, 3, v9
	v_lshlrev_b32_e32 v4, 3, v8
	ds_read_b64 v[0:1], v6
	ds_read_b64 v[2:3], v4 offset:512
	v_mov_b32_e32 v5, 0
	s_ashr_i32 s1, s9, 31
	s_mov_b32 s0, s9
	s_waitcnt lgkmcnt(0)
	v_pk_add_f32 v[0:1], v[0:1], v[2:3]
	ds_write_b64 v6, v[0:1]
	ds_read_b64 v[2:3], v4 offset:1024
	s_waitcnt lgkmcnt(0)
	v_pk_add_f32 v[0:1], v[0:1], v[2:3]
	ds_write_b64 v6, v[0:1]
	ds_read_b64 v[2:3], v4 offset:1536
	;; [unrolled: 4-line block ×14, first 2 shown]
	v_or_b32_e32 v4, s30, v8
	v_cmp_gt_i64_e32 vcc, s[0:1], v[4:5]
	s_waitcnt lgkmcnt(0)
	v_pk_add_f32 v[2:3], v[0:1], v[2:3]
	ds_write_b64 v6, v[2:3]
	s_and_b64 exec, exec, vcc
	s_cbranch_execz .LBB5_28
; %bb.25:
	v_pk_mul_f32 v[6:7], v[2:3], s[10:11] op_sel:[1,0]
	v_pk_fma_f32 v[0:1], v[2:3], s[10:11], v[6:7] op_sel:[0,0,1] op_sel_hi:[0,1,0] neg_lo:[0,0,1] neg_hi:[0,0,1]
	v_pk_fma_f32 v[2:3], v[2:3], s[10:11], v[6:7] op_sel:[0,0,1] op_sel_hi:[0,1,0]
	v_mad_u64_u32 v[6:7], s[4:5], v4, s14, 0
	v_mov_b32_e32 v2, v7
	v_cmp_neq_f32_e64 s[0:1], s12, 0
	v_cmp_neq_f32_e64 s[2:3], s13, 0
	v_mad_u64_u32 v[4:5], s[4:5], v4, s15, v[2:3]
	v_mov_b32_e32 v7, v4
	s_or_b64 s[0:1], s[0:1], s[2:3]
	s_andn2_b64 vcc, exec, s[0:1]
	v_lshlrev_b64 v[4:5], 3, v[6:7]
	s_cbranch_vccnz .LBB5_27
; %bb.26:
	v_mov_b32_e32 v1, s29
	v_add_co_u32_e32 v6, vcc, s28, v4
	v_addc_co_u32_e32 v7, vcc, v1, v5, vcc
	global_load_dwordx2 v[6:7], v[6:7], off
	v_mov_b32_e32 v1, v3
	s_waitcnt vmcnt(0)
	v_pk_mul_f32 v[2:3], s[12:13], v[6:7] op_sel:[0,1]
	v_pk_fma_f32 v[8:9], s[12:13], v[6:7], v[2:3] op_sel:[0,0,1] op_sel_hi:[1,1,0] neg_lo:[0,0,1] neg_hi:[0,0,1]
	v_pk_fma_f32 v[2:3], s[12:13], v[6:7], v[2:3] op_sel:[0,0,1] op_sel_hi:[1,0,0]
	v_mov_b32_e32 v9, v3
	v_pk_add_f32 v[0:1], v[0:1], v[8:9]
	v_mov_b32_e32 v3, v1
.LBB5_27:
	v_mov_b32_e32 v1, s29
	v_add_co_u32_e32 v4, vcc, s28, v4
	v_addc_co_u32_e32 v5, vcc, v1, v5, vcc
	v_mov_b32_e32 v1, v3
	global_store_dwordx2 v[4:5], v[0:1], off
.LBB5_28:
	s_endpgm
	.section	.rodata,"a",@progbits
	.p2align	6, 0x0
	.amdhsa_kernel _ZL19rocblas_hpmv_kernelILi64ELi16E19rocblas_complex_numIfEPKPKS1_PKPS1_EvbiT1_T2_llSA_lllS9_T3_llli
		.amdhsa_group_segment_fixed_size 8192
		.amdhsa_private_segment_fixed_size 0
		.amdhsa_kernarg_size 116
		.amdhsa_user_sgpr_count 6
		.amdhsa_user_sgpr_private_segment_buffer 1
		.amdhsa_user_sgpr_dispatch_ptr 0
		.amdhsa_user_sgpr_queue_ptr 0
		.amdhsa_user_sgpr_kernarg_segment_ptr 1
		.amdhsa_user_sgpr_dispatch_id 0
		.amdhsa_user_sgpr_flat_scratch_init 0
		.amdhsa_user_sgpr_kernarg_preload_length 0
		.amdhsa_user_sgpr_kernarg_preload_offset 0
		.amdhsa_user_sgpr_private_segment_size 0
		.amdhsa_uses_dynamic_stack 0
		.amdhsa_system_sgpr_private_segment_wavefront_offset 0
		.amdhsa_system_sgpr_workgroup_id_x 1
		.amdhsa_system_sgpr_workgroup_id_y 0
		.amdhsa_system_sgpr_workgroup_id_z 1
		.amdhsa_system_sgpr_workgroup_info 0
		.amdhsa_system_vgpr_workitem_id 1
		.amdhsa_next_free_vgpr 22
		.amdhsa_next_free_sgpr 31
		.amdhsa_accum_offset 24
		.amdhsa_reserve_vcc 1
		.amdhsa_reserve_flat_scratch 0
		.amdhsa_float_round_mode_32 0
		.amdhsa_float_round_mode_16_64 0
		.amdhsa_float_denorm_mode_32 3
		.amdhsa_float_denorm_mode_16_64 3
		.amdhsa_dx10_clamp 1
		.amdhsa_ieee_mode 1
		.amdhsa_fp16_overflow 0
		.amdhsa_tg_split 0
		.amdhsa_exception_fp_ieee_invalid_op 0
		.amdhsa_exception_fp_denorm_src 0
		.amdhsa_exception_fp_ieee_div_zero 0
		.amdhsa_exception_fp_ieee_overflow 0
		.amdhsa_exception_fp_ieee_underflow 0
		.amdhsa_exception_fp_ieee_inexact 0
		.amdhsa_exception_int_div_zero 0
	.end_amdhsa_kernel
	.section	.text._ZL19rocblas_hpmv_kernelILi64ELi16E19rocblas_complex_numIfEPKPKS1_PKPS1_EvbiT1_T2_llSA_lllS9_T3_llli,"axG",@progbits,_ZL19rocblas_hpmv_kernelILi64ELi16E19rocblas_complex_numIfEPKPKS1_PKPS1_EvbiT1_T2_llSA_lllS9_T3_llli,comdat
.Lfunc_end5:
	.size	_ZL19rocblas_hpmv_kernelILi64ELi16E19rocblas_complex_numIfEPKPKS1_PKPS1_EvbiT1_T2_llSA_lllS9_T3_llli, .Lfunc_end5-_ZL19rocblas_hpmv_kernelILi64ELi16E19rocblas_complex_numIfEPKPKS1_PKPS1_EvbiT1_T2_llSA_lllS9_T3_llli
                                        ; -- End function
	.section	.AMDGPU.csdata,"",@progbits
; Kernel info:
; codeLenInByte = 1720
; NumSgprs: 35
; NumVgprs: 22
; NumAgprs: 0
; TotalNumVgprs: 22
; ScratchSize: 0
; MemoryBound: 0
; FloatMode: 240
; IeeeMode: 1
; LDSByteSize: 8192 bytes/workgroup (compile time only)
; SGPRBlocks: 4
; VGPRBlocks: 2
; NumSGPRsForWavesPerEU: 35
; NumVGPRsForWavesPerEU: 22
; AccumOffset: 24
; Occupancy: 8
; WaveLimiterHint : 1
; COMPUTE_PGM_RSRC2:SCRATCH_EN: 0
; COMPUTE_PGM_RSRC2:USER_SGPR: 6
; COMPUTE_PGM_RSRC2:TRAP_HANDLER: 0
; COMPUTE_PGM_RSRC2:TGID_X_EN: 1
; COMPUTE_PGM_RSRC2:TGID_Y_EN: 0
; COMPUTE_PGM_RSRC2:TGID_Z_EN: 1
; COMPUTE_PGM_RSRC2:TIDIG_COMP_CNT: 1
; COMPUTE_PGM_RSRC3_GFX90A:ACCUM_OFFSET: 5
; COMPUTE_PGM_RSRC3_GFX90A:TG_SPLIT: 0
	.section	.text._ZL19rocblas_hpmv_kernelILi64ELi16EPK19rocblas_complex_numIdEPKS3_PKPS1_EvbiT1_T2_llSA_lllS9_T3_llli,"axG",@progbits,_ZL19rocblas_hpmv_kernelILi64ELi16EPK19rocblas_complex_numIdEPKS3_PKPS1_EvbiT1_T2_llSA_lllS9_T3_llli,comdat
	.globl	_ZL19rocblas_hpmv_kernelILi64ELi16EPK19rocblas_complex_numIdEPKS3_PKPS1_EvbiT1_T2_llSA_lllS9_T3_llli ; -- Begin function _ZL19rocblas_hpmv_kernelILi64ELi16EPK19rocblas_complex_numIdEPKS3_PKPS1_EvbiT1_T2_llSA_lllS9_T3_llli
	.p2align	8
	.type	_ZL19rocblas_hpmv_kernelILi64ELi16EPK19rocblas_complex_numIdEPKS3_PKPS1_EvbiT1_T2_llSA_lllS9_T3_llli,@function
_ZL19rocblas_hpmv_kernelILi64ELi16EPK19rocblas_complex_numIdEPKS3_PKPS1_EvbiT1_T2_llSA_lllS9_T3_llli: ; @_ZL19rocblas_hpmv_kernelILi64ELi16EPK19rocblas_complex_numIdEPKS3_PKPS1_EvbiT1_T2_llSA_lllS9_T3_llli
; %bb.0:
	s_load_dwordx4 s[0:3], s[4:5], 0x8
	s_load_dwordx8 s[8:15], s[4:5], 0x48
	s_mov_b32 s36, s7
	s_waitcnt lgkmcnt(0)
	s_load_dwordx4 s[20:23], s[0:1], 0x0
	s_load_dwordx4 s[16:19], s[8:9], 0x0
	s_waitcnt lgkmcnt(0)
	v_cmp_neq_f64_e64 s[0:1], s[20:21], 0
	v_cmp_neq_f64_e64 s[8:9], s[22:23], 0
	s_or_b64 s[34:35], s[0:1], s[8:9]
	s_mov_b64 s[0:1], -1
	s_and_b64 vcc, exec, s[34:35]
	s_cbranch_vccnz .LBB6_2
; %bb.1:
	v_cmp_neq_f64_e64 s[0:1], s[16:17], 1.0
	v_cmp_neq_f64_e64 s[8:9], s[18:19], 0
	s_or_b64 s[0:1], s[0:1], s[8:9]
.LBB6_2:
	s_andn2_b64 vcc, exec, s[0:1]
	s_cbranch_vccnz .LBB6_35
; %bb.3:
	s_xor_b64 s[8:9], s[34:35], -1
	v_cndmask_b32_e64 v1, 0, 1, s[8:9]
	v_cmp_ne_u32_e64 s[0:1], 1, v1
	s_andn2_b64 vcc, exec, s[8:9]
	s_cbranch_vccnz .LBB6_5
; %bb.4:
	s_mov_b32 s37, 0
	s_mov_b64 s[28:29], 0
	s_cbranch_execz .LBB6_6
	s_branch .LBB6_7
.LBB6_5:
                                        ; implicit-def: $sgpr28_sgpr29
.LBB6_6:
	s_mov_b32 s37, 0
	s_lshl_b64 s[24:25], s[36:37], 3
	s_add_u32 s2, s2, s24
	s_load_dwordx2 s[8:9], s[4:5], 0x18
	s_addc_u32 s3, s3, s25
	s_load_dwordx2 s[2:3], s[2:3], 0x0
	s_waitcnt lgkmcnt(0)
	s_lshl_b64 s[8:9], s[8:9], 4
	s_add_u32 s28, s2, s8
	s_addc_u32 s29, s3, s9
.LBB6_7:
	s_load_dwordx4 s[24:27], s[4:5], 0x28
	s_load_dwordx2 s[30:31], s[4:5], 0x38
	s_mov_b64 s[8:9], 0
	s_andn2_b64 vcc, exec, s[34:35]
	s_mov_b64 s[34:35], 0
	s_cbranch_vccnz .LBB6_9
; %bb.8:
	s_lshl_b64 s[2:3], s[36:37], 3
	s_waitcnt lgkmcnt(0)
	s_add_u32 s2, s24, s2
	s_addc_u32 s3, s25, s3
	s_load_dwordx2 s[2:3], s[2:3], 0x0
	s_lshl_b64 s[24:25], s[26:27], 4
	s_waitcnt lgkmcnt(0)
	s_add_u32 s34, s2, s24
	s_addc_u32 s35, s3, s25
.LBB6_9:
	s_lshl_b64 s[2:3], s[36:37], 3
	s_add_u32 s2, s10, s2
	s_addc_u32 s3, s11, s3
	s_waitcnt lgkmcnt(0)
	s_load_dwordx2 s[24:25], s[2:3], 0x0
	s_load_dwordx2 s[10:11], s[4:5], 0x0
	s_lshl_b64 s[2:3], s[12:13], 4
	v_and_b32_e32 v12, 0x3ff, v0
	v_bfe_u32 v0, v0, 10, 10
	s_waitcnt lgkmcnt(0)
	s_add_u32 s33, s24, s2
	s_addc_u32 s36, s25, s3
	v_and_b32_e32 v15, 63, v12
	s_lshl_b32 s37, s6, 6
	v_lshl_add_u32 v13, v0, 6, v12
	v_or_b32_e32 v14, s37, v15
	s_and_b64 vcc, exec, s[0:1]
	v_cmp_gt_i32_e64 s[0:1], s11, v14
	v_cmp_gt_u32_e64 s[2:3], 64, v13
	s_cbranch_vccnz .LBB6_16
; %bb.10:
	s_and_b64 s[4:5], s[2:3], s[0:1]
	s_mov_b64 s[0:1], 0
                                        ; implicit-def: $vgpr2_vgpr3
                                        ; implicit-def: $vgpr8_vgpr9
	s_and_saveexec_b64 s[2:3], s[4:5]
	s_cbranch_execz .LBB6_17
; %bb.11:
	v_or_b32_e32 v0, s37, v12
	v_cmp_gt_i32_e32 vcc, s11, v0
	s_mov_b64 s[6:7], 0
                                        ; implicit-def: $vgpr2_vgpr3
                                        ; implicit-def: $vgpr8_vgpr9
	s_and_saveexec_b64 s[4:5], vcc
	s_cbranch_execz .LBB6_15
; %bb.12:
	v_cmp_neq_f64_e64 s[6:7], s[16:17], 0
	v_cmp_neq_f64_e64 s[8:9], s[18:19], 0
	v_ashrrev_i32_e32 v1, 31, v0
	v_pk_mov_b32 v[2:3], 0, 0
	v_mul_lo_u32 v4, v0, s15
	v_mul_lo_u32 v1, v1, s14
	v_mad_u64_u32 v[8:9], s[12:13], v0, s14, 0
	s_or_b64 s[6:7], s[6:7], s[8:9]
	v_add3_u32 v9, v9, v4, v1
	s_andn2_b64 vcc, exec, s[6:7]
	v_pk_mov_b32 v[0:1], v[2:3], v[2:3] op_sel:[0,1]
	s_cbranch_vccnz .LBB6_14
; %bb.13:
	v_lshlrev_b64 v[0:1], 4, v[8:9]
	v_mov_b32_e32 v2, s36
	v_add_co_u32_e32 v0, vcc, s33, v0
	v_addc_co_u32_e32 v1, vcc, v2, v1, vcc
	global_load_dwordx4 v[4:7], v[0:1], off
	s_waitcnt vmcnt(0)
	v_mul_f64 v[0:1], s[18:19], v[6:7]
	v_mul_f64 v[2:3], s[16:17], v[6:7]
	v_fma_f64 v[0:1], s[16:17], v[4:5], -v[0:1]
	v_fmac_f64_e32 v[2:3], s[18:19], v[4:5]
.LBB6_14:
	s_mov_b64 s[6:7], exec
.LBB6_15:
	s_or_b64 exec, exec, s[4:5]
	s_and_b64 s[8:9], s[6:7], exec
	s_or_b64 exec, exec, s[2:3]
	s_and_b64 vcc, exec, s[0:1]
	s_cbranch_vccnz .LBB6_18
	s_branch .LBB6_33
.LBB6_16:
                                        ; implicit-def: $vgpr2_vgpr3
                                        ; implicit-def: $vgpr8_vgpr9
	s_cbranch_execnz .LBB6_18
	s_branch .LBB6_33
.LBB6_17:
	s_or_b64 exec, exec, s[2:3]
	s_and_b64 vcc, exec, s[0:1]
	s_cbranch_vccz .LBB6_33
.LBB6_18:
	v_lshrrev_b32_e32 v16, 6, v13
	v_pk_mov_b32 v[2:3], 0, 0
	v_cmp_gt_i32_e32 vcc, s11, v16
	v_pk_mov_b32 v[0:1], v[2:3], v[2:3] op_sel:[0,1]
	s_and_saveexec_b64 s[12:13], vcc
	s_cbranch_execz .LBB6_26
; %bb.19:
	s_bitcmp1_b32 s10, 0
	s_cselect_b64 vcc, -1, 0
	s_lshl_b32 s2, s11, 1
	v_lshrrev_b32_e32 v3, 6, v13
	s_or_b32 s10, s2, 1
	v_mad_u64_u32 v[0:1], s[2:3], s30, v3, 0
	v_mov_b32_e32 v2, v1
	v_mad_u64_u32 v[2:3], s[2:3], s31, v3, v[2:3]
	v_mov_b32_e32 v1, v2
	v_lshlrev_b64 v[0:1], 4, v[0:1]
	v_mov_b32_e32 v2, s35
	v_add_co_u32_e64 v4, s[2:3], s34, v0
	v_addc_co_u32_e64 v5, s[2:3], v2, v1, s[2:3]
	v_pk_mov_b32 v[2:3], 0, 0
	v_cmp_gt_i32_e64 s[0:1], s11, v14
	s_lshl_b64 s[24:25], s[30:31], 8
	v_add_u32_e32 v17, s37, v15
	s_mov_b64 s[26:27], 0
	s_xor_b64 s[30:31], vcc, -1
	v_mov_b32_e32 v7, 0
	v_pk_mov_b32 v[0:1], v[2:3], v[2:3] op_sel:[0,1]
	s_branch .LBB6_22
.LBB6_20:                               ;   in Loop: Header=BB6_22 Depth=1
	s_or_b64 exec, exec, s[6:7]
	flat_load_dwordx4 v[18:21], v[4:5]
	flat_load_dwordx2 v[22:23], v[10:11]
	s_waitcnt vmcnt(0) lgkmcnt(0)
	v_mul_f64 v[10:11], v[8:9], v[20:21]
	v_mul_f64 v[20:21], v[22:23], v[20:21]
	v_fma_f64 v[10:11], v[22:23], v[18:19], -v[10:11]
	v_fmac_f64_e32 v[20:21], v[8:9], v[18:19]
	v_add_f64 v[0:1], v[0:1], v[10:11]
	v_add_f64 v[2:3], v[2:3], v[20:21]
.LBB6_21:                               ;   in Loop: Header=BB6_22 Depth=1
	s_or_b64 exec, exec, s[34:35]
	v_add_u32_e32 v16, 16, v16
	v_cmp_le_i32_e64 s[2:3], s11, v16
	v_mov_b32_e32 v6, s25
	s_or_b64 s[26:27], s[2:3], s[26:27]
	v_add_co_u32_e64 v4, s[2:3], s24, v4
	v_addc_co_u32_e64 v5, s[2:3], v5, v6, s[2:3]
	s_andn2_b64 exec, exec, s[26:27]
	s_cbranch_execz .LBB6_25
.LBB6_22:                               ; =>This Inner Loop Header: Depth=1
	s_and_saveexec_b64 s[34:35], s[0:1]
	s_cbranch_execz .LBB6_21
; %bb.23:                               ;   in Loop: Header=BB6_22 Depth=1
	v_cmp_le_i32_e64 s[2:3], v14, v16
	s_or_b64 s[4:5], s[2:3], s[30:31]
	v_cmp_ge_i32_e64 s[2:3], v14, v16
	s_or_b64 s[2:3], s[2:3], vcc
	s_and_b64 s[2:3], s[4:5], s[2:3]
	v_cndmask_b32_e64 v9, v14, v16, s[2:3]
	v_sub_u32_e32 v10, s10, v9
	v_add_u32_e32 v11, 1, v9
	v_cndmask_b32_e64 v6, v16, v14, s[2:3]
	v_cndmask_b32_e64 v8, v9, 0, vcc
	v_cndmask_b32_e32 v10, v10, v11, vcc
	v_sub_u32_e32 v8, v6, v8
	v_mul_hi_i32 v6, v10, v9
	v_lshrrev_b32_e32 v6, 31, v6
	v_mad_i64_i32 v[10:11], s[4:5], v10, v9, v[6:7]
	v_lshlrev_b64 v[10:11], 3, v[10:11]
	v_and_b32_e32 v6, -16, v10
	v_ashrrev_i32_e32 v9, 31, v8
	v_mov_b32_e32 v10, s29
	v_add_co_u32_e64 v6, s[6:7], s28, v6
	v_addc_co_u32_e64 v11, s[6:7], v10, v11, s[6:7]
	v_lshlrev_b64 v[8:9], 4, v[8:9]
	v_add_co_u32_e64 v10, s[6:7], v6, v8
	v_cmp_ne_u32_e64 s[4:5], v17, v16
	v_addc_co_u32_e64 v11, s[6:7], v11, v9, s[6:7]
	v_pk_mov_b32 v[8:9], 0, 0
	s_and_saveexec_b64 s[6:7], s[4:5]
	s_cbranch_execz .LBB6_20
; %bb.24:                               ;   in Loop: Header=BB6_22 Depth=1
	flat_load_dwordx2 v[8:9], v[10:11] offset:8
	s_waitcnt vmcnt(0) lgkmcnt(0)
	v_xor_b32_e32 v6, 0x80000000, v9
	v_cndmask_b32_e64 v9, v6, v9, s[2:3]
	v_cndmask_b32_e64 v8, v8, v8, s[2:3]
	s_branch .LBB6_20
.LBB6_25:
	s_or_b64 exec, exec, s[26:27]
.LBB6_26:
	s_or_b64 exec, exec, s[12:13]
	s_mov_b32 s0, 0x1ffc0
	v_and_or_b32 v4, v13, s0, v15
	v_cmp_gt_u32_e32 vcc, 64, v13
	v_cmp_gt_i32_e64 s[0:1], s11, v14
	v_lshlrev_b32_e32 v4, 4, v4
	s_and_b64 s[2:3], vcc, s[0:1]
	ds_write_b128 v4, v[0:3]
	s_waitcnt lgkmcnt(0)
	s_barrier
	s_waitcnt lgkmcnt(0)
                                        ; implicit-def: $vgpr2_vgpr3
                                        ; implicit-def: $vgpr8_vgpr9
	s_and_saveexec_b64 s[0:1], s[2:3]
	s_cbranch_execz .LBB6_32
; %bb.27:
	v_lshlrev_b32_e32 v0, 4, v13
	v_lshlrev_b32_e32 v1, 4, v12
	ds_read_b128 v[2:5], v0
	ds_read_b128 v[6:9], v1 offset:1024
	v_or_b32_e32 v10, s37, v12
	v_mov_b32_e32 v11, 0
	s_ashr_i32 s3, s11, 31
	s_mov_b32 s2, s11
	s_waitcnt lgkmcnt(0)
	v_add_f64 v[2:3], v[2:3], v[6:7]
	v_add_f64 v[4:5], v[4:5], v[8:9]
	ds_write_b128 v0, v[2:5]
	ds_read_b128 v[6:9], v1 offset:2048
	v_cmp_gt_i64_e32 vcc, s[2:3], v[10:11]
	s_mov_b64 s[4:5], s[8:9]
	s_waitcnt lgkmcnt(0)
	v_add_f64 v[2:3], v[2:3], v[6:7]
	v_add_f64 v[4:5], v[4:5], v[8:9]
	ds_write_b128 v0, v[2:5]
	ds_read_b128 v[6:9], v1 offset:3072
	s_waitcnt lgkmcnt(0)
	v_add_f64 v[2:3], v[2:3], v[6:7]
	v_add_f64 v[4:5], v[4:5], v[8:9]
	ds_write_b128 v0, v[2:5]
	ds_read_b128 v[6:9], v1 offset:4096
	;; [unrolled: 5-line block ×13, first 2 shown]
                                        ; implicit-def: $vgpr2_vgpr3
	s_waitcnt lgkmcnt(0)
	v_add_f64 v[4:5], v[6:7], v[12:13]
	v_add_f64 v[6:7], v[8:9], v[14:15]
	ds_write_b128 v0, v[4:7]
                                        ; implicit-def: $vgpr8_vgpr9
	s_and_saveexec_b64 s[2:3], vcc
	s_cbranch_execz .LBB6_31
; %bb.28:
	v_mul_f64 v[0:1], s[22:23], v[6:7]
	v_mul_f64 v[2:3], s[20:21], v[6:7]
	v_mad_u64_u32 v[8:9], s[10:11], v10, s14, 0
	v_cmp_neq_f64_e64 s[4:5], s[16:17], 0
	v_cmp_neq_f64_e64 s[6:7], s[18:19], 0
	v_fma_f64 v[0:1], s[20:21], v[4:5], -v[0:1]
	v_fmac_f64_e32 v[2:3], s[22:23], v[4:5]
	v_mov_b32_e32 v4, v9
	v_mad_u64_u32 v[4:5], s[10:11], v10, s15, v[4:5]
	s_or_b64 s[4:5], s[4:5], s[6:7]
	s_andn2_b64 vcc, exec, s[4:5]
	v_mov_b32_e32 v9, v4
	s_cbranch_vccnz .LBB6_30
; %bb.29:
	v_lshlrev_b64 v[4:5], 4, v[8:9]
	v_mov_b32_e32 v6, s36
	v_add_co_u32_e32 v4, vcc, s33, v4
	v_addc_co_u32_e32 v5, vcc, v6, v5, vcc
	global_load_dwordx4 v[4:7], v[4:5], off
	s_waitcnt vmcnt(0)
	v_mul_f64 v[10:11], s[18:19], v[6:7]
	v_mul_f64 v[6:7], s[16:17], v[6:7]
	v_fma_f64 v[10:11], s[16:17], v[4:5], -v[10:11]
	v_fmac_f64_e32 v[6:7], s[18:19], v[4:5]
	v_add_f64 v[0:1], v[0:1], v[10:11]
	v_add_f64 v[2:3], v[2:3], v[6:7]
.LBB6_30:
	s_or_b64 s[4:5], s[8:9], exec
.LBB6_31:
	s_or_b64 exec, exec, s[2:3]
	s_andn2_b64 s[2:3], s[8:9], exec
	s_and_b64 s[4:5], s[4:5], exec
	s_or_b64 s[8:9], s[2:3], s[4:5]
.LBB6_32:
	s_or_b64 exec, exec, s[0:1]
.LBB6_33:
	s_and_saveexec_b64 s[0:1], s[8:9]
	s_cbranch_execz .LBB6_35
; %bb.34:
	v_lshlrev_b64 v[4:5], 4, v[8:9]
	v_mov_b32_e32 v6, s36
	v_add_co_u32_e32 v4, vcc, s33, v4
	v_addc_co_u32_e32 v5, vcc, v6, v5, vcc
	global_store_dwordx4 v[4:5], v[0:3], off
.LBB6_35:
	s_endpgm
	.section	.rodata,"a",@progbits
	.p2align	6, 0x0
	.amdhsa_kernel _ZL19rocblas_hpmv_kernelILi64ELi16EPK19rocblas_complex_numIdEPKS3_PKPS1_EvbiT1_T2_llSA_lllS9_T3_llli
		.amdhsa_group_segment_fixed_size 16384
		.amdhsa_private_segment_fixed_size 0
		.amdhsa_kernarg_size 116
		.amdhsa_user_sgpr_count 6
		.amdhsa_user_sgpr_private_segment_buffer 1
		.amdhsa_user_sgpr_dispatch_ptr 0
		.amdhsa_user_sgpr_queue_ptr 0
		.amdhsa_user_sgpr_kernarg_segment_ptr 1
		.amdhsa_user_sgpr_dispatch_id 0
		.amdhsa_user_sgpr_flat_scratch_init 0
		.amdhsa_user_sgpr_kernarg_preload_length 0
		.amdhsa_user_sgpr_kernarg_preload_offset 0
		.amdhsa_user_sgpr_private_segment_size 0
		.amdhsa_uses_dynamic_stack 0
		.amdhsa_system_sgpr_private_segment_wavefront_offset 0
		.amdhsa_system_sgpr_workgroup_id_x 1
		.amdhsa_system_sgpr_workgroup_id_y 0
		.amdhsa_system_sgpr_workgroup_id_z 1
		.amdhsa_system_sgpr_workgroup_info 0
		.amdhsa_system_vgpr_workitem_id 1
		.amdhsa_next_free_vgpr 24
		.amdhsa_next_free_sgpr 38
		.amdhsa_accum_offset 24
		.amdhsa_reserve_vcc 1
		.amdhsa_reserve_flat_scratch 0
		.amdhsa_float_round_mode_32 0
		.amdhsa_float_round_mode_16_64 0
		.amdhsa_float_denorm_mode_32 3
		.amdhsa_float_denorm_mode_16_64 3
		.amdhsa_dx10_clamp 1
		.amdhsa_ieee_mode 1
		.amdhsa_fp16_overflow 0
		.amdhsa_tg_split 0
		.amdhsa_exception_fp_ieee_invalid_op 0
		.amdhsa_exception_fp_denorm_src 0
		.amdhsa_exception_fp_ieee_div_zero 0
		.amdhsa_exception_fp_ieee_overflow 0
		.amdhsa_exception_fp_ieee_underflow 0
		.amdhsa_exception_fp_ieee_inexact 0
		.amdhsa_exception_int_div_zero 0
	.end_amdhsa_kernel
	.section	.text._ZL19rocblas_hpmv_kernelILi64ELi16EPK19rocblas_complex_numIdEPKS3_PKPS1_EvbiT1_T2_llSA_lllS9_T3_llli,"axG",@progbits,_ZL19rocblas_hpmv_kernelILi64ELi16EPK19rocblas_complex_numIdEPKS3_PKPS1_EvbiT1_T2_llSA_lllS9_T3_llli,comdat
.Lfunc_end6:
	.size	_ZL19rocblas_hpmv_kernelILi64ELi16EPK19rocblas_complex_numIdEPKS3_PKPS1_EvbiT1_T2_llSA_lllS9_T3_llli, .Lfunc_end6-_ZL19rocblas_hpmv_kernelILi64ELi16EPK19rocblas_complex_numIdEPKS3_PKPS1_EvbiT1_T2_llSA_lllS9_T3_llli
                                        ; -- End function
	.section	.AMDGPU.csdata,"",@progbits
; Kernel info:
; codeLenInByte = 1968
; NumSgprs: 42
; NumVgprs: 24
; NumAgprs: 0
; TotalNumVgprs: 24
; ScratchSize: 0
; MemoryBound: 0
; FloatMode: 240
; IeeeMode: 1
; LDSByteSize: 16384 bytes/workgroup (compile time only)
; SGPRBlocks: 5
; VGPRBlocks: 2
; NumSGPRsForWavesPerEU: 42
; NumVGPRsForWavesPerEU: 24
; AccumOffset: 24
; Occupancy: 8
; WaveLimiterHint : 1
; COMPUTE_PGM_RSRC2:SCRATCH_EN: 0
; COMPUTE_PGM_RSRC2:USER_SGPR: 6
; COMPUTE_PGM_RSRC2:TRAP_HANDLER: 0
; COMPUTE_PGM_RSRC2:TGID_X_EN: 1
; COMPUTE_PGM_RSRC2:TGID_Y_EN: 0
; COMPUTE_PGM_RSRC2:TGID_Z_EN: 1
; COMPUTE_PGM_RSRC2:TIDIG_COMP_CNT: 1
; COMPUTE_PGM_RSRC3_GFX90A:ACCUM_OFFSET: 5
; COMPUTE_PGM_RSRC3_GFX90A:TG_SPLIT: 0
	.section	.text._ZL19rocblas_hpmv_kernelILi64ELi16E19rocblas_complex_numIdEPKPKS1_PKPS1_EvbiT1_T2_llSA_lllS9_T3_llli,"axG",@progbits,_ZL19rocblas_hpmv_kernelILi64ELi16E19rocblas_complex_numIdEPKPKS1_PKPS1_EvbiT1_T2_llSA_lllS9_T3_llli,comdat
	.globl	_ZL19rocblas_hpmv_kernelILi64ELi16E19rocblas_complex_numIdEPKPKS1_PKPS1_EvbiT1_T2_llSA_lllS9_T3_llli ; -- Begin function _ZL19rocblas_hpmv_kernelILi64ELi16E19rocblas_complex_numIdEPKPKS1_PKPS1_EvbiT1_T2_llSA_lllS9_T3_llli
	.p2align	8
	.type	_ZL19rocblas_hpmv_kernelILi64ELi16E19rocblas_complex_numIdEPKPKS1_PKPS1_EvbiT1_T2_llSA_lllS9_T3_llli,@function
_ZL19rocblas_hpmv_kernelILi64ELi16E19rocblas_complex_numIdEPKPKS1_PKPS1_EvbiT1_T2_llSA_lllS9_T3_llli: ; @_ZL19rocblas_hpmv_kernelILi64ELi16E19rocblas_complex_numIdEPKPKS1_PKPS1_EvbiT1_T2_llSA_lllS9_T3_llli
; %bb.0:
	s_load_dwordx8 s[16:23], s[4:5], 0x8
	s_load_dwordx8 s[8:15], s[4:5], 0x50
	s_mov_b32 s2, s7
	s_waitcnt lgkmcnt(0)
	v_cmp_neq_f64_e64 s[0:1], s[16:17], 0
	v_cmp_neq_f64_e64 s[24:25], s[18:19], 0
	s_or_b64 s[34:35], s[0:1], s[24:25]
	s_mov_b64 s[0:1], -1
	s_and_b64 vcc, exec, s[34:35]
	s_cbranch_vccnz .LBB7_2
; %bb.1:
	v_cmp_neq_f64_e64 s[0:1], s[8:9], 1.0
	v_cmp_neq_f64_e64 s[24:25], s[10:11], 0
	s_or_b64 s[0:1], s[0:1], s[24:25]
.LBB7_2:
	s_andn2_b64 vcc, exec, s[0:1]
	s_cbranch_vccnz .LBB7_35
; %bb.3:
	s_load_dwordx2 s[24:25], s[4:5], 0x70
	s_xor_b64 s[26:27], s[34:35], -1
	v_cndmask_b32_e64 v1, 0, 1, s[26:27]
	v_cmp_ne_u32_e64 s[0:1], 1, v1
	s_andn2_b64 vcc, exec, s[26:27]
	s_cbranch_vccnz .LBB7_5
; %bb.4:
	s_mov_b32 s3, 0
	s_mov_b64 s[28:29], 0
	s_cbranch_execz .LBB7_6
	s_branch .LBB7_7
.LBB7_5:
                                        ; implicit-def: $sgpr28_sgpr29
.LBB7_6:
	s_mov_b32 s3, 0
	s_lshl_b64 s[26:27], s[2:3], 3
	s_add_u32 s20, s20, s26
	s_addc_u32 s21, s21, s27
	s_load_dwordx2 s[20:21], s[20:21], 0x0
	s_lshl_b64 s[22:23], s[22:23], 4
	s_waitcnt lgkmcnt(0)
	s_add_u32 s28, s20, s22
	s_addc_u32 s29, s21, s23
.LBB7_7:
	s_load_dwordx4 s[20:23], s[4:5], 0x30
	s_load_dwordx2 s[30:31], s[4:5], 0x40
	s_mov_b64 s[26:27], 0
	s_andn2_b64 vcc, exec, s[34:35]
	s_mov_b64 s[34:35], 0
	s_cbranch_vccnz .LBB7_9
; %bb.8:
	s_lshl_b64 s[34:35], s[2:3], 3
	s_waitcnt lgkmcnt(0)
	s_add_u32 s20, s20, s34
	s_addc_u32 s21, s21, s35
	s_load_dwordx2 s[20:21], s[20:21], 0x0
	s_lshl_b64 s[22:23], s[22:23], 4
	s_waitcnt lgkmcnt(0)
	s_add_u32 s34, s20, s22
	s_addc_u32 s35, s21, s23
.LBB7_9:
	s_lshl_b64 s[2:3], s[2:3], 3
	s_add_u32 s2, s12, s2
	s_addc_u32 s3, s13, s3
	s_waitcnt lgkmcnt(0)
	s_load_dwordx2 s[20:21], s[2:3], 0x0
	s_load_dwordx2 s[12:13], s[4:5], 0x0
	s_lshl_b64 s[2:3], s[14:15], 4
	v_and_b32_e32 v12, 0x3ff, v0
	v_bfe_u32 v0, v0, 10, 10
	s_waitcnt lgkmcnt(0)
	s_add_u32 s33, s20, s2
	s_addc_u32 s36, s21, s3
	v_and_b32_e32 v15, 63, v12
	s_lshl_b32 s37, s6, 6
	v_lshl_add_u32 v13, v0, 6, v12
	v_or_b32_e32 v14, s37, v15
	s_and_b64 vcc, exec, s[0:1]
	v_cmp_gt_i32_e64 s[0:1], s13, v14
	v_cmp_gt_u32_e64 s[2:3], 64, v13
	s_cbranch_vccnz .LBB7_16
; %bb.10:
	s_and_b64 s[4:5], s[2:3], s[0:1]
	s_mov_b64 s[0:1], 0
                                        ; implicit-def: $vgpr2_vgpr3
                                        ; implicit-def: $vgpr8_vgpr9
	s_and_saveexec_b64 s[2:3], s[4:5]
	s_cbranch_execz .LBB7_17
; %bb.11:
	v_or_b32_e32 v0, s37, v12
	v_cmp_gt_i32_e32 vcc, s13, v0
	s_mov_b64 s[6:7], 0
                                        ; implicit-def: $vgpr2_vgpr3
                                        ; implicit-def: $vgpr8_vgpr9
	s_and_saveexec_b64 s[4:5], vcc
	s_cbranch_execz .LBB7_15
; %bb.12:
	v_cmp_neq_f64_e64 s[6:7], s[8:9], 0
	v_cmp_neq_f64_e64 s[14:15], s[10:11], 0
	v_ashrrev_i32_e32 v1, 31, v0
	v_pk_mov_b32 v[2:3], 0, 0
	v_mul_lo_u32 v4, v0, s25
	v_mul_lo_u32 v1, v1, s24
	v_mad_u64_u32 v[8:9], s[20:21], v0, s24, 0
	s_or_b64 s[6:7], s[6:7], s[14:15]
	v_add3_u32 v9, v9, v4, v1
	s_andn2_b64 vcc, exec, s[6:7]
	v_pk_mov_b32 v[0:1], v[2:3], v[2:3] op_sel:[0,1]
	s_cbranch_vccnz .LBB7_14
; %bb.13:
	v_lshlrev_b64 v[0:1], 4, v[8:9]
	v_mov_b32_e32 v2, s36
	v_add_co_u32_e32 v0, vcc, s33, v0
	v_addc_co_u32_e32 v1, vcc, v2, v1, vcc
	global_load_dwordx4 v[4:7], v[0:1], off
	s_waitcnt vmcnt(0)
	v_mul_f64 v[0:1], s[10:11], v[6:7]
	v_mul_f64 v[2:3], s[8:9], v[6:7]
	v_fma_f64 v[0:1], s[8:9], v[4:5], -v[0:1]
	v_fmac_f64_e32 v[2:3], s[10:11], v[4:5]
.LBB7_14:
	s_mov_b64 s[6:7], exec
.LBB7_15:
	s_or_b64 exec, exec, s[4:5]
	s_and_b64 s[26:27], s[6:7], exec
	s_or_b64 exec, exec, s[2:3]
	s_and_b64 vcc, exec, s[0:1]
	s_cbranch_vccnz .LBB7_18
	s_branch .LBB7_33
.LBB7_16:
                                        ; implicit-def: $vgpr2_vgpr3
                                        ; implicit-def: $vgpr8_vgpr9
	s_cbranch_execnz .LBB7_18
	s_branch .LBB7_33
.LBB7_17:
	s_or_b64 exec, exec, s[2:3]
	s_and_b64 vcc, exec, s[0:1]
	s_cbranch_vccz .LBB7_33
.LBB7_18:
	v_lshrrev_b32_e32 v16, 6, v13
	v_pk_mov_b32 v[2:3], 0, 0
	v_cmp_gt_i32_e32 vcc, s13, v16
	v_pk_mov_b32 v[0:1], v[2:3], v[2:3] op_sel:[0,1]
	s_and_saveexec_b64 s[14:15], vcc
	s_cbranch_execz .LBB7_26
; %bb.19:
	s_bitcmp1_b32 s12, 0
	s_cselect_b64 vcc, -1, 0
	s_lshl_b32 s2, s13, 1
	v_lshrrev_b32_e32 v3, 6, v13
	s_or_b32 s12, s2, 1
	v_mad_u64_u32 v[0:1], s[2:3], s30, v3, 0
	v_mov_b32_e32 v2, v1
	v_mad_u64_u32 v[2:3], s[2:3], s31, v3, v[2:3]
	v_mov_b32_e32 v1, v2
	v_lshlrev_b64 v[0:1], 4, v[0:1]
	v_mov_b32_e32 v2, s35
	v_add_co_u32_e64 v4, s[2:3], s34, v0
	v_addc_co_u32_e64 v5, s[2:3], v2, v1, s[2:3]
	v_pk_mov_b32 v[2:3], 0, 0
	v_cmp_gt_i32_e64 s[0:1], s13, v14
	s_lshl_b64 s[20:21], s[30:31], 8
	v_add_u32_e32 v17, s37, v15
	s_mov_b64 s[22:23], 0
	s_xor_b64 s[30:31], vcc, -1
	v_mov_b32_e32 v7, 0
	v_pk_mov_b32 v[0:1], v[2:3], v[2:3] op_sel:[0,1]
	s_branch .LBB7_22
.LBB7_20:                               ;   in Loop: Header=BB7_22 Depth=1
	s_or_b64 exec, exec, s[6:7]
	flat_load_dwordx4 v[18:21], v[4:5]
	flat_load_dwordx2 v[22:23], v[10:11]
	s_waitcnt vmcnt(0) lgkmcnt(0)
	v_mul_f64 v[10:11], v[8:9], v[20:21]
	v_mul_f64 v[20:21], v[22:23], v[20:21]
	v_fma_f64 v[10:11], v[22:23], v[18:19], -v[10:11]
	v_fmac_f64_e32 v[20:21], v[8:9], v[18:19]
	v_add_f64 v[0:1], v[0:1], v[10:11]
	v_add_f64 v[2:3], v[2:3], v[20:21]
.LBB7_21:                               ;   in Loop: Header=BB7_22 Depth=1
	s_or_b64 exec, exec, s[34:35]
	v_add_u32_e32 v16, 16, v16
	v_cmp_le_i32_e64 s[2:3], s13, v16
	v_mov_b32_e32 v6, s21
	s_or_b64 s[22:23], s[2:3], s[22:23]
	v_add_co_u32_e64 v4, s[2:3], s20, v4
	v_addc_co_u32_e64 v5, s[2:3], v5, v6, s[2:3]
	s_andn2_b64 exec, exec, s[22:23]
	s_cbranch_execz .LBB7_25
.LBB7_22:                               ; =>This Inner Loop Header: Depth=1
	s_and_saveexec_b64 s[34:35], s[0:1]
	s_cbranch_execz .LBB7_21
; %bb.23:                               ;   in Loop: Header=BB7_22 Depth=1
	v_cmp_le_i32_e64 s[2:3], v14, v16
	s_or_b64 s[4:5], s[2:3], s[30:31]
	v_cmp_ge_i32_e64 s[2:3], v14, v16
	s_or_b64 s[2:3], s[2:3], vcc
	s_and_b64 s[2:3], s[4:5], s[2:3]
	v_cndmask_b32_e64 v9, v14, v16, s[2:3]
	v_sub_u32_e32 v10, s12, v9
	v_add_u32_e32 v11, 1, v9
	v_cndmask_b32_e64 v6, v16, v14, s[2:3]
	v_cndmask_b32_e64 v8, v9, 0, vcc
	v_cndmask_b32_e32 v10, v10, v11, vcc
	v_sub_u32_e32 v8, v6, v8
	v_mul_hi_i32 v6, v10, v9
	v_lshrrev_b32_e32 v6, 31, v6
	v_mad_i64_i32 v[10:11], s[4:5], v10, v9, v[6:7]
	v_lshlrev_b64 v[10:11], 3, v[10:11]
	v_and_b32_e32 v6, -16, v10
	v_ashrrev_i32_e32 v9, 31, v8
	v_mov_b32_e32 v10, s29
	v_add_co_u32_e64 v6, s[6:7], s28, v6
	v_addc_co_u32_e64 v11, s[6:7], v10, v11, s[6:7]
	v_lshlrev_b64 v[8:9], 4, v[8:9]
	v_add_co_u32_e64 v10, s[6:7], v6, v8
	v_cmp_ne_u32_e64 s[4:5], v17, v16
	v_addc_co_u32_e64 v11, s[6:7], v11, v9, s[6:7]
	v_pk_mov_b32 v[8:9], 0, 0
	s_and_saveexec_b64 s[6:7], s[4:5]
	s_cbranch_execz .LBB7_20
; %bb.24:                               ;   in Loop: Header=BB7_22 Depth=1
	flat_load_dwordx2 v[8:9], v[10:11] offset:8
	s_waitcnt vmcnt(0) lgkmcnt(0)
	v_xor_b32_e32 v6, 0x80000000, v9
	v_cndmask_b32_e64 v9, v6, v9, s[2:3]
	v_cndmask_b32_e64 v8, v8, v8, s[2:3]
	s_branch .LBB7_20
.LBB7_25:
	s_or_b64 exec, exec, s[22:23]
.LBB7_26:
	s_or_b64 exec, exec, s[14:15]
	s_mov_b32 s0, 0x1ffc0
	v_and_or_b32 v4, v13, s0, v15
	v_cmp_gt_u32_e32 vcc, 64, v13
	v_cmp_gt_i32_e64 s[0:1], s13, v14
	v_lshlrev_b32_e32 v4, 4, v4
	s_and_b64 s[2:3], vcc, s[0:1]
	ds_write_b128 v4, v[0:3]
	s_waitcnt lgkmcnt(0)
	s_barrier
	s_waitcnt lgkmcnt(0)
                                        ; implicit-def: $vgpr2_vgpr3
                                        ; implicit-def: $vgpr8_vgpr9
	s_and_saveexec_b64 s[0:1], s[2:3]
	s_cbranch_execz .LBB7_32
; %bb.27:
	v_lshlrev_b32_e32 v0, 4, v13
	v_lshlrev_b32_e32 v1, 4, v12
	ds_read_b128 v[2:5], v0
	ds_read_b128 v[6:9], v1 offset:1024
	v_or_b32_e32 v10, s37, v12
	v_mov_b32_e32 v11, 0
	s_ashr_i32 s3, s13, 31
	s_mov_b32 s2, s13
	s_waitcnt lgkmcnt(0)
	v_add_f64 v[2:3], v[2:3], v[6:7]
	v_add_f64 v[4:5], v[4:5], v[8:9]
	ds_write_b128 v0, v[2:5]
	ds_read_b128 v[6:9], v1 offset:2048
	v_cmp_gt_i64_e32 vcc, s[2:3], v[10:11]
	s_mov_b64 s[4:5], s[26:27]
	s_waitcnt lgkmcnt(0)
	v_add_f64 v[2:3], v[2:3], v[6:7]
	v_add_f64 v[4:5], v[4:5], v[8:9]
	ds_write_b128 v0, v[2:5]
	ds_read_b128 v[6:9], v1 offset:3072
	s_waitcnt lgkmcnt(0)
	v_add_f64 v[2:3], v[2:3], v[6:7]
	v_add_f64 v[4:5], v[4:5], v[8:9]
	ds_write_b128 v0, v[2:5]
	ds_read_b128 v[6:9], v1 offset:4096
	;; [unrolled: 5-line block ×13, first 2 shown]
                                        ; implicit-def: $vgpr2_vgpr3
	s_waitcnt lgkmcnt(0)
	v_add_f64 v[4:5], v[6:7], v[12:13]
	v_add_f64 v[6:7], v[8:9], v[14:15]
	ds_write_b128 v0, v[4:7]
                                        ; implicit-def: $vgpr8_vgpr9
	s_and_saveexec_b64 s[2:3], vcc
	s_cbranch_execz .LBB7_31
; %bb.28:
	v_mul_f64 v[0:1], s[18:19], v[6:7]
	v_mul_f64 v[2:3], s[16:17], v[6:7]
	v_mad_u64_u32 v[8:9], s[12:13], v10, s24, 0
	v_cmp_neq_f64_e64 s[4:5], s[8:9], 0
	v_cmp_neq_f64_e64 s[6:7], s[10:11], 0
	v_fma_f64 v[0:1], s[16:17], v[4:5], -v[0:1]
	v_fmac_f64_e32 v[2:3], s[18:19], v[4:5]
	v_mov_b32_e32 v4, v9
	v_mad_u64_u32 v[4:5], s[12:13], v10, s25, v[4:5]
	s_or_b64 s[4:5], s[4:5], s[6:7]
	s_andn2_b64 vcc, exec, s[4:5]
	v_mov_b32_e32 v9, v4
	s_cbranch_vccnz .LBB7_30
; %bb.29:
	v_lshlrev_b64 v[4:5], 4, v[8:9]
	v_mov_b32_e32 v6, s36
	v_add_co_u32_e32 v4, vcc, s33, v4
	v_addc_co_u32_e32 v5, vcc, v6, v5, vcc
	global_load_dwordx4 v[4:7], v[4:5], off
	s_waitcnt vmcnt(0)
	v_mul_f64 v[10:11], s[10:11], v[6:7]
	v_mul_f64 v[6:7], s[8:9], v[6:7]
	v_fma_f64 v[10:11], s[8:9], v[4:5], -v[10:11]
	v_fmac_f64_e32 v[6:7], s[10:11], v[4:5]
	v_add_f64 v[0:1], v[0:1], v[10:11]
	v_add_f64 v[2:3], v[2:3], v[6:7]
.LBB7_30:
	s_or_b64 s[4:5], s[26:27], exec
.LBB7_31:
	s_or_b64 exec, exec, s[2:3]
	s_andn2_b64 s[2:3], s[26:27], exec
	s_and_b64 s[4:5], s[4:5], exec
	s_or_b64 s[26:27], s[2:3], s[4:5]
.LBB7_32:
	s_or_b64 exec, exec, s[0:1]
.LBB7_33:
	s_and_saveexec_b64 s[0:1], s[26:27]
	s_cbranch_execz .LBB7_35
; %bb.34:
	v_lshlrev_b64 v[4:5], 4, v[8:9]
	v_mov_b32_e32 v6, s36
	v_add_co_u32_e32 v4, vcc, s33, v4
	v_addc_co_u32_e32 v5, vcc, v6, v5, vcc
	global_store_dwordx4 v[4:5], v[0:3], off
.LBB7_35:
	s_endpgm
	.section	.rodata,"a",@progbits
	.p2align	6, 0x0
	.amdhsa_kernel _ZL19rocblas_hpmv_kernelILi64ELi16E19rocblas_complex_numIdEPKPKS1_PKPS1_EvbiT1_T2_llSA_lllS9_T3_llli
		.amdhsa_group_segment_fixed_size 16384
		.amdhsa_private_segment_fixed_size 0
		.amdhsa_kernarg_size 132
		.amdhsa_user_sgpr_count 6
		.amdhsa_user_sgpr_private_segment_buffer 1
		.amdhsa_user_sgpr_dispatch_ptr 0
		.amdhsa_user_sgpr_queue_ptr 0
		.amdhsa_user_sgpr_kernarg_segment_ptr 1
		.amdhsa_user_sgpr_dispatch_id 0
		.amdhsa_user_sgpr_flat_scratch_init 0
		.amdhsa_user_sgpr_kernarg_preload_length 0
		.amdhsa_user_sgpr_kernarg_preload_offset 0
		.amdhsa_user_sgpr_private_segment_size 0
		.amdhsa_uses_dynamic_stack 0
		.amdhsa_system_sgpr_private_segment_wavefront_offset 0
		.amdhsa_system_sgpr_workgroup_id_x 1
		.amdhsa_system_sgpr_workgroup_id_y 0
		.amdhsa_system_sgpr_workgroup_id_z 1
		.amdhsa_system_sgpr_workgroup_info 0
		.amdhsa_system_vgpr_workitem_id 1
		.amdhsa_next_free_vgpr 24
		.amdhsa_next_free_sgpr 38
		.amdhsa_accum_offset 24
		.amdhsa_reserve_vcc 1
		.amdhsa_reserve_flat_scratch 0
		.amdhsa_float_round_mode_32 0
		.amdhsa_float_round_mode_16_64 0
		.amdhsa_float_denorm_mode_32 3
		.amdhsa_float_denorm_mode_16_64 3
		.amdhsa_dx10_clamp 1
		.amdhsa_ieee_mode 1
		.amdhsa_fp16_overflow 0
		.amdhsa_tg_split 0
		.amdhsa_exception_fp_ieee_invalid_op 0
		.amdhsa_exception_fp_denorm_src 0
		.amdhsa_exception_fp_ieee_div_zero 0
		.amdhsa_exception_fp_ieee_overflow 0
		.amdhsa_exception_fp_ieee_underflow 0
		.amdhsa_exception_fp_ieee_inexact 0
		.amdhsa_exception_int_div_zero 0
	.end_amdhsa_kernel
	.section	.text._ZL19rocblas_hpmv_kernelILi64ELi16E19rocblas_complex_numIdEPKPKS1_PKPS1_EvbiT1_T2_llSA_lllS9_T3_llli,"axG",@progbits,_ZL19rocblas_hpmv_kernelILi64ELi16E19rocblas_complex_numIdEPKPKS1_PKPS1_EvbiT1_T2_llSA_lllS9_T3_llli,comdat
.Lfunc_end7:
	.size	_ZL19rocblas_hpmv_kernelILi64ELi16E19rocblas_complex_numIdEPKPKS1_PKPS1_EvbiT1_T2_llSA_lllS9_T3_llli, .Lfunc_end7-_ZL19rocblas_hpmv_kernelILi64ELi16E19rocblas_complex_numIdEPKPKS1_PKPS1_EvbiT1_T2_llSA_lllS9_T3_llli
                                        ; -- End function
	.section	.AMDGPU.csdata,"",@progbits
; Kernel info:
; codeLenInByte = 1948
; NumSgprs: 42
; NumVgprs: 24
; NumAgprs: 0
; TotalNumVgprs: 24
; ScratchSize: 0
; MemoryBound: 0
; FloatMode: 240
; IeeeMode: 1
; LDSByteSize: 16384 bytes/workgroup (compile time only)
; SGPRBlocks: 5
; VGPRBlocks: 2
; NumSGPRsForWavesPerEU: 42
; NumVGPRsForWavesPerEU: 24
; AccumOffset: 24
; Occupancy: 8
; WaveLimiterHint : 1
; COMPUTE_PGM_RSRC2:SCRATCH_EN: 0
; COMPUTE_PGM_RSRC2:USER_SGPR: 6
; COMPUTE_PGM_RSRC2:TRAP_HANDLER: 0
; COMPUTE_PGM_RSRC2:TGID_X_EN: 1
; COMPUTE_PGM_RSRC2:TGID_Y_EN: 0
; COMPUTE_PGM_RSRC2:TGID_Z_EN: 1
; COMPUTE_PGM_RSRC2:TIDIG_COMP_CNT: 1
; COMPUTE_PGM_RSRC3_GFX90A:ACCUM_OFFSET: 5
; COMPUTE_PGM_RSRC3_GFX90A:TG_SPLIT: 0
	.text
	.p2alignl 6, 3212836864
	.fill 256, 4, 3212836864
	.type	__hip_cuid_4928b7f3b7592485,@object ; @__hip_cuid_4928b7f3b7592485
	.section	.bss,"aw",@nobits
	.globl	__hip_cuid_4928b7f3b7592485
__hip_cuid_4928b7f3b7592485:
	.byte	0                               ; 0x0
	.size	__hip_cuid_4928b7f3b7592485, 1

	.ident	"AMD clang version 19.0.0git (https://github.com/RadeonOpenCompute/llvm-project roc-6.4.0 25133 c7fe45cf4b819c5991fe208aaa96edf142730f1d)"
	.section	".note.GNU-stack","",@progbits
	.addrsig
	.addrsig_sym __hip_cuid_4928b7f3b7592485
	.amdgpu_metadata
---
amdhsa.kernels:
  - .agpr_count:     0
    .args:
      - .offset:         0
        .size:           1
        .value_kind:     by_value
      - .offset:         4
        .size:           4
        .value_kind:     by_value
      - .address_space:  global
        .offset:         8
        .size:           8
        .value_kind:     global_buffer
      - .address_space:  global
        .offset:         16
        .size:           8
        .value_kind:     global_buffer
      - .offset:         24
        .size:           8
        .value_kind:     by_value
      - .offset:         32
        .size:           8
        .value_kind:     by_value
      - .address_space:  global
        .offset:         40
        .size:           8
        .value_kind:     global_buffer
      - .offset:         48
        .size:           8
        .value_kind:     by_value
      - .offset:         56
        .size:           8
        .value_kind:     by_value
      - .offset:         64
        .size:           8
        .value_kind:     by_value
      - .address_space:  global
        .offset:         72
        .size:           8
        .value_kind:     global_buffer
      - .address_space:  global
        .offset:         80
        .size:           8
        .value_kind:     global_buffer
      - .offset:         88
        .size:           8
        .value_kind:     by_value
      - .offset:         96
        .size:           8
        .value_kind:     by_value
      - .offset:         104
        .size:           8
        .value_kind:     by_value
      - .offset:         112
        .size:           4
        .value_kind:     by_value
    .group_segment_fixed_size: 8192
    .kernarg_segment_align: 8
    .kernarg_segment_size: 116
    .language:       OpenCL C
    .language_version:
      - 2
      - 0
    .max_flat_workgroup_size: 1024
    .name:           _ZL19rocblas_hpmv_kernelILi64ELi16EPK19rocblas_complex_numIfES3_PS1_EvbiT1_T2_llS6_lllS5_T3_llli
    .private_segment_fixed_size: 0
    .sgpr_count:     42
    .sgpr_spill_count: 0
    .symbol:         _ZL19rocblas_hpmv_kernelILi64ELi16EPK19rocblas_complex_numIfES3_PS1_EvbiT1_T2_llS6_lllS5_T3_llli.kd
    .uniform_work_group_size: 1
    .uses_dynamic_stack: false
    .vgpr_count:     22
    .vgpr_spill_count: 0
    .wavefront_size: 64
  - .agpr_count:     0
    .args:
      - .offset:         0
        .size:           1
        .value_kind:     by_value
      - .offset:         4
        .size:           4
        .value_kind:     by_value
      - .offset:         8
        .size:           8
        .value_kind:     by_value
      - .address_space:  global
        .offset:         16
        .size:           8
        .value_kind:     global_buffer
      - .offset:         24
        .size:           8
        .value_kind:     by_value
      - .offset:         32
        .size:           8
        .value_kind:     by_value
      - .address_space:  global
        .offset:         40
        .size:           8
        .value_kind:     global_buffer
      - .offset:         48
        .size:           8
        .value_kind:     by_value
      - .offset:         56
        .size:           8
        .value_kind:     by_value
      - .offset:         64
        .size:           8
        .value_kind:     by_value
      - .offset:         72
        .size:           8
        .value_kind:     by_value
      - .address_space:  global
        .offset:         80
        .size:           8
        .value_kind:     global_buffer
      - .offset:         88
        .size:           8
        .value_kind:     by_value
      - .offset:         96
        .size:           8
        .value_kind:     by_value
      - .offset:         104
        .size:           8
        .value_kind:     by_value
      - .offset:         112
        .size:           4
        .value_kind:     by_value
    .group_segment_fixed_size: 8192
    .kernarg_segment_align: 8
    .kernarg_segment_size: 116
    .language:       OpenCL C
    .language_version:
      - 2
      - 0
    .max_flat_workgroup_size: 1024
    .name:           _ZL19rocblas_hpmv_kernelILi64ELi16E19rocblas_complex_numIfEPKS1_PS1_EvbiT1_T2_llS6_lllS5_T3_llli
    .private_segment_fixed_size: 0
    .sgpr_count:     46
    .sgpr_spill_count: 0
    .symbol:         _ZL19rocblas_hpmv_kernelILi64ELi16E19rocblas_complex_numIfEPKS1_PS1_EvbiT1_T2_llS6_lllS5_T3_llli.kd
    .uniform_work_group_size: 1
    .uses_dynamic_stack: false
    .vgpr_count:     22
    .vgpr_spill_count: 0
    .wavefront_size: 64
  - .agpr_count:     0
    .args:
      - .offset:         0
        .size:           1
        .value_kind:     by_value
      - .offset:         4
        .size:           4
        .value_kind:     by_value
      - .address_space:  global
        .offset:         8
        .size:           8
        .value_kind:     global_buffer
      - .address_space:  global
        .offset:         16
        .size:           8
        .value_kind:     global_buffer
      - .offset:         24
        .size:           8
        .value_kind:     by_value
      - .offset:         32
        .size:           8
        .value_kind:     by_value
      - .address_space:  global
        .offset:         40
        .size:           8
        .value_kind:     global_buffer
      - .offset:         48
        .size:           8
        .value_kind:     by_value
      - .offset:         56
        .size:           8
        .value_kind:     by_value
      - .offset:         64
        .size:           8
        .value_kind:     by_value
      - .address_space:  global
        .offset:         72
        .size:           8
        .value_kind:     global_buffer
      - .address_space:  global
        .offset:         80
        .size:           8
        .value_kind:     global_buffer
      - .offset:         88
        .size:           8
        .value_kind:     by_value
      - .offset:         96
        .size:           8
        .value_kind:     by_value
      - .offset:         104
        .size:           8
        .value_kind:     by_value
      - .offset:         112
        .size:           4
        .value_kind:     by_value
    .group_segment_fixed_size: 16384
    .kernarg_segment_align: 8
    .kernarg_segment_size: 116
    .language:       OpenCL C
    .language_version:
      - 2
      - 0
    .max_flat_workgroup_size: 1024
    .name:           _ZL19rocblas_hpmv_kernelILi64ELi16EPK19rocblas_complex_numIdES3_PS1_EvbiT1_T2_llS6_lllS5_T3_llli
    .private_segment_fixed_size: 0
    .sgpr_count:     48
    .sgpr_spill_count: 0
    .symbol:         _ZL19rocblas_hpmv_kernelILi64ELi16EPK19rocblas_complex_numIdES3_PS1_EvbiT1_T2_llS6_lllS5_T3_llli.kd
    .uniform_work_group_size: 1
    .uses_dynamic_stack: false
    .vgpr_count:     24
    .vgpr_spill_count: 0
    .wavefront_size: 64
  - .agpr_count:     0
    .args:
      - .offset:         0
        .size:           1
        .value_kind:     by_value
      - .offset:         4
        .size:           4
        .value_kind:     by_value
      - .offset:         8
        .size:           16
        .value_kind:     by_value
      - .address_space:  global
        .offset:         24
        .size:           8
        .value_kind:     global_buffer
      - .offset:         32
        .size:           8
        .value_kind:     by_value
      - .offset:         40
        .size:           8
        .value_kind:     by_value
      - .address_space:  global
        .offset:         48
        .size:           8
        .value_kind:     global_buffer
      - .offset:         56
        .size:           8
        .value_kind:     by_value
      - .offset:         64
        .size:           8
        .value_kind:     by_value
      - .offset:         72
        .size:           8
        .value_kind:     by_value
      - .offset:         80
        .size:           16
        .value_kind:     by_value
      - .address_space:  global
        .offset:         96
        .size:           8
        .value_kind:     global_buffer
      - .offset:         104
        .size:           8
        .value_kind:     by_value
      - .offset:         112
        .size:           8
        .value_kind:     by_value
      - .offset:         120
        .size:           8
        .value_kind:     by_value
      - .offset:         128
        .size:           4
        .value_kind:     by_value
    .group_segment_fixed_size: 16384
    .kernarg_segment_align: 8
    .kernarg_segment_size: 132
    .language:       OpenCL C
    .language_version:
      - 2
      - 0
    .max_flat_workgroup_size: 1024
    .name:           _ZL19rocblas_hpmv_kernelILi64ELi16E19rocblas_complex_numIdEPKS1_PS1_EvbiT1_T2_llS6_lllS5_T3_llli
    .private_segment_fixed_size: 0
    .sgpr_count:     48
    .sgpr_spill_count: 0
    .symbol:         _ZL19rocblas_hpmv_kernelILi64ELi16E19rocblas_complex_numIdEPKS1_PS1_EvbiT1_T2_llS6_lllS5_T3_llli.kd
    .uniform_work_group_size: 1
    .uses_dynamic_stack: false
    .vgpr_count:     24
    .vgpr_spill_count: 0
    .wavefront_size: 64
  - .agpr_count:     0
    .args:
      - .offset:         0
        .size:           1
        .value_kind:     by_value
      - .offset:         4
        .size:           4
        .value_kind:     by_value
      - .address_space:  global
        .offset:         8
        .size:           8
        .value_kind:     global_buffer
      - .address_space:  global
        .offset:         16
        .size:           8
        .value_kind:     global_buffer
      - .offset:         24
        .size:           8
        .value_kind:     by_value
      - .offset:         32
        .size:           8
        .value_kind:     by_value
      - .address_space:  global
        .offset:         40
        .size:           8
        .value_kind:     global_buffer
      - .offset:         48
        .size:           8
        .value_kind:     by_value
      - .offset:         56
        .size:           8
        .value_kind:     by_value
      - .offset:         64
        .size:           8
        .value_kind:     by_value
      - .address_space:  global
        .offset:         72
        .size:           8
        .value_kind:     global_buffer
      - .address_space:  global
        .offset:         80
        .size:           8
        .value_kind:     global_buffer
      - .offset:         88
        .size:           8
        .value_kind:     by_value
      - .offset:         96
        .size:           8
        .value_kind:     by_value
      - .offset:         104
        .size:           8
        .value_kind:     by_value
      - .offset:         112
        .size:           4
        .value_kind:     by_value
    .group_segment_fixed_size: 8192
    .kernarg_segment_align: 8
    .kernarg_segment_size: 116
    .language:       OpenCL C
    .language_version:
      - 2
      - 0
    .max_flat_workgroup_size: 1024
    .name:           _ZL19rocblas_hpmv_kernelILi64ELi16EPK19rocblas_complex_numIfEPKS3_PKPS1_EvbiT1_T2_llSA_lllS9_T3_llli
    .private_segment_fixed_size: 0
    .sgpr_count:     38
    .sgpr_spill_count: 0
    .symbol:         _ZL19rocblas_hpmv_kernelILi64ELi16EPK19rocblas_complex_numIfEPKS3_PKPS1_EvbiT1_T2_llSA_lllS9_T3_llli.kd
    .uniform_work_group_size: 1
    .uses_dynamic_stack: false
    .vgpr_count:     22
    .vgpr_spill_count: 0
    .wavefront_size: 64
  - .agpr_count:     0
    .args:
      - .offset:         0
        .size:           1
        .value_kind:     by_value
      - .offset:         4
        .size:           4
        .value_kind:     by_value
      - .offset:         8
        .size:           8
        .value_kind:     by_value
      - .address_space:  global
        .offset:         16
        .size:           8
        .value_kind:     global_buffer
      - .offset:         24
        .size:           8
        .value_kind:     by_value
      - .offset:         32
        .size:           8
        .value_kind:     by_value
      - .address_space:  global
        .offset:         40
        .size:           8
        .value_kind:     global_buffer
      - .offset:         48
        .size:           8
        .value_kind:     by_value
      - .offset:         56
        .size:           8
        .value_kind:     by_value
      - .offset:         64
        .size:           8
        .value_kind:     by_value
      - .offset:         72
        .size:           8
        .value_kind:     by_value
      - .address_space:  global
        .offset:         80
        .size:           8
        .value_kind:     global_buffer
      - .offset:         88
        .size:           8
        .value_kind:     by_value
      - .offset:         96
        .size:           8
        .value_kind:     by_value
      - .offset:         104
        .size:           8
        .value_kind:     by_value
      - .offset:         112
        .size:           4
        .value_kind:     by_value
    .group_segment_fixed_size: 8192
    .kernarg_segment_align: 8
    .kernarg_segment_size: 116
    .language:       OpenCL C
    .language_version:
      - 2
      - 0
    .max_flat_workgroup_size: 1024
    .name:           _ZL19rocblas_hpmv_kernelILi64ELi16E19rocblas_complex_numIfEPKPKS1_PKPS1_EvbiT1_T2_llSA_lllS9_T3_llli
    .private_segment_fixed_size: 0
    .sgpr_count:     35
    .sgpr_spill_count: 0
    .symbol:         _ZL19rocblas_hpmv_kernelILi64ELi16E19rocblas_complex_numIfEPKPKS1_PKPS1_EvbiT1_T2_llSA_lllS9_T3_llli.kd
    .uniform_work_group_size: 1
    .uses_dynamic_stack: false
    .vgpr_count:     22
    .vgpr_spill_count: 0
    .wavefront_size: 64
  - .agpr_count:     0
    .args:
      - .offset:         0
        .size:           1
        .value_kind:     by_value
      - .offset:         4
        .size:           4
        .value_kind:     by_value
      - .address_space:  global
        .offset:         8
        .size:           8
        .value_kind:     global_buffer
      - .address_space:  global
        .offset:         16
        .size:           8
        .value_kind:     global_buffer
      - .offset:         24
        .size:           8
        .value_kind:     by_value
      - .offset:         32
        .size:           8
        .value_kind:     by_value
      - .address_space:  global
        .offset:         40
        .size:           8
        .value_kind:     global_buffer
      - .offset:         48
        .size:           8
        .value_kind:     by_value
      - .offset:         56
        .size:           8
        .value_kind:     by_value
      - .offset:         64
        .size:           8
        .value_kind:     by_value
      - .address_space:  global
        .offset:         72
        .size:           8
        .value_kind:     global_buffer
      - .address_space:  global
        .offset:         80
        .size:           8
        .value_kind:     global_buffer
      - .offset:         88
        .size:           8
        .value_kind:     by_value
      - .offset:         96
        .size:           8
        .value_kind:     by_value
      - .offset:         104
        .size:           8
        .value_kind:     by_value
      - .offset:         112
        .size:           4
        .value_kind:     by_value
    .group_segment_fixed_size: 16384
    .kernarg_segment_align: 8
    .kernarg_segment_size: 116
    .language:       OpenCL C
    .language_version:
      - 2
      - 0
    .max_flat_workgroup_size: 1024
    .name:           _ZL19rocblas_hpmv_kernelILi64ELi16EPK19rocblas_complex_numIdEPKS3_PKPS1_EvbiT1_T2_llSA_lllS9_T3_llli
    .private_segment_fixed_size: 0
    .sgpr_count:     42
    .sgpr_spill_count: 0
    .symbol:         _ZL19rocblas_hpmv_kernelILi64ELi16EPK19rocblas_complex_numIdEPKS3_PKPS1_EvbiT1_T2_llSA_lllS9_T3_llli.kd
    .uniform_work_group_size: 1
    .uses_dynamic_stack: false
    .vgpr_count:     24
    .vgpr_spill_count: 0
    .wavefront_size: 64
  - .agpr_count:     0
    .args:
      - .offset:         0
        .size:           1
        .value_kind:     by_value
      - .offset:         4
        .size:           4
        .value_kind:     by_value
      - .offset:         8
        .size:           16
        .value_kind:     by_value
      - .address_space:  global
        .offset:         24
        .size:           8
        .value_kind:     global_buffer
      - .offset:         32
        .size:           8
        .value_kind:     by_value
      - .offset:         40
        .size:           8
        .value_kind:     by_value
      - .address_space:  global
        .offset:         48
        .size:           8
        .value_kind:     global_buffer
      - .offset:         56
        .size:           8
        .value_kind:     by_value
      - .offset:         64
        .size:           8
        .value_kind:     by_value
      - .offset:         72
        .size:           8
        .value_kind:     by_value
      - .offset:         80
        .size:           16
        .value_kind:     by_value
      - .address_space:  global
        .offset:         96
        .size:           8
        .value_kind:     global_buffer
      - .offset:         104
        .size:           8
        .value_kind:     by_value
      - .offset:         112
        .size:           8
        .value_kind:     by_value
      - .offset:         120
        .size:           8
        .value_kind:     by_value
      - .offset:         128
        .size:           4
        .value_kind:     by_value
    .group_segment_fixed_size: 16384
    .kernarg_segment_align: 8
    .kernarg_segment_size: 132
    .language:       OpenCL C
    .language_version:
      - 2
      - 0
    .max_flat_workgroup_size: 1024
    .name:           _ZL19rocblas_hpmv_kernelILi64ELi16E19rocblas_complex_numIdEPKPKS1_PKPS1_EvbiT1_T2_llSA_lllS9_T3_llli
    .private_segment_fixed_size: 0
    .sgpr_count:     42
    .sgpr_spill_count: 0
    .symbol:         _ZL19rocblas_hpmv_kernelILi64ELi16E19rocblas_complex_numIdEPKPKS1_PKPS1_EvbiT1_T2_llSA_lllS9_T3_llli.kd
    .uniform_work_group_size: 1
    .uses_dynamic_stack: false
    .vgpr_count:     24
    .vgpr_spill_count: 0
    .wavefront_size: 64
amdhsa.target:   amdgcn-amd-amdhsa--gfx90a
amdhsa.version:
  - 1
  - 2
...

	.end_amdgpu_metadata
